;; amdgpu-corpus repo=ROCm/rocFFT kind=compiled arch=gfx1201 opt=O3
	.text
	.amdgcn_target "amdgcn-amd-amdhsa--gfx1201"
	.amdhsa_code_object_version 6
	.protected	bluestein_single_fwd_len1280_dim1_dp_op_CI_CI ; -- Begin function bluestein_single_fwd_len1280_dim1_dp_op_CI_CI
	.globl	bluestein_single_fwd_len1280_dim1_dp_op_CI_CI
	.p2align	8
	.type	bluestein_single_fwd_len1280_dim1_dp_op_CI_CI,@function
bluestein_single_fwd_len1280_dim1_dp_op_CI_CI: ; @bluestein_single_fwd_len1280_dim1_dp_op_CI_CI
; %bb.0:
	s_load_b128 s[16:19], s[0:1], 0x28
	v_mul_u32_u24_e32 v1, 0x334, v0
	s_mov_b32 s2, exec_lo
	v_mov_b32_e32 v5, 0
	s_delay_alu instid0(VALU_DEP_2) | instskip(NEXT) | instid1(VALU_DEP_1)
	v_lshrrev_b32_e32 v1, 16, v1
	v_add_nc_u32_e32 v4, ttmp9, v1
	s_wait_kmcnt 0x0
	s_delay_alu instid0(VALU_DEP_1)
	v_cmpx_gt_u64_e64 s[16:17], v[4:5]
	s_cbranch_execz .LBB0_10
; %bb.1:
	s_clause 0x1
	s_load_b128 s[4:7], s[0:1], 0x18
	s_load_b128 s[8:11], s[0:1], 0x0
	v_mul_lo_u16 v1, 0x50, v1
	v_mov_b32_e32 v5, v4
	s_mov_b32 s21, 0x3fed906b
	s_mov_b32 s16, 0xa6aea964
	;; [unrolled: 1-line block ×3, first 2 shown]
	v_sub_nc_u16 v64, v0, v1
	scratch_store_b64 off, v[5:6], off offset:96 ; 8-byte Folded Spill
	s_load_b64 s[0:1], s[0:1], 0x38
	v_and_b32_e32 v255, 0xffff, v64
	s_wait_kmcnt 0x0
	s_load_b128 s[12:15], s[4:5], 0x0
	s_wait_kmcnt 0x0
	v_mad_co_u64_u32 v[0:1], null, s14, v4, 0
	v_mad_co_u64_u32 v[2:3], null, s12, v255, 0
	s_mul_u64 s[2:3], s[12:13], 0x500
	s_delay_alu instid0(VALU_DEP_1) | instskip(SKIP_4) | instid1(VALU_DEP_1)
	v_mad_co_u64_u32 v[4:5], null, s15, v4, v[1:2]
	s_mov_b32 s14, 0xcf328d46
	s_mov_b32 s15, 0xbfed906b
	s_wait_alu 0xfffe
	s_mov_b32 s20, s14
	v_mad_co_u64_u32 v[5:6], null, s13, v255, v[3:4]
	v_mov_b32_e32 v1, v4
	v_or_b32_e32 v6, 0x280, v255
	s_delay_alu instid0(VALU_DEP_2) | instskip(NEXT) | instid1(VALU_DEP_4)
	v_lshlrev_b64_e32 v[0:1], 4, v[0:1]
	v_mov_b32_e32 v3, v5
	s_delay_alu instid0(VALU_DEP_3) | instskip(NEXT) | instid1(VALU_DEP_2)
	v_mad_co_u64_u32 v[28:29], null, s12, v6, 0
	v_lshlrev_b64_e32 v[2:3], 4, v[2:3]
	s_delay_alu instid0(VALU_DEP_4) | instskip(SKIP_1) | instid1(VALU_DEP_4)
	v_add_co_u32 v0, vcc_lo, s18, v0
	v_add_co_ci_u32_e32 v1, vcc_lo, s19, v1, vcc_lo
	v_dual_mov_b32 v8, v29 :: v_dual_lshlrev_b32 v237, 4, v255
	s_delay_alu instid0(VALU_DEP_3) | instskip(SKIP_1) | instid1(VALU_DEP_3)
	v_add_co_u32 v56, vcc_lo, v0, v2
	s_wait_alu 0xfffd
	v_add_co_ci_u32_e32 v57, vcc_lo, v1, v3, vcc_lo
	s_clause 0x1
	global_load_b128 v[9:12], v237, s[8:9]
	global_load_b128 v[2:5], v237, s[8:9] offset:1280
	v_add_co_u32 v58, vcc_lo, v56, s2
	s_wait_alu 0xfffd
	v_add_co_ci_u32_e32 v59, vcc_lo, s3, v57, vcc_lo
	scratch_store_b32 off, v6, off offset:108 ; 4-byte Folded Spill
	v_add_co_u32 v60, vcc_lo, v58, s2
	s_wait_alu 0xfffd
	v_add_co_ci_u32_e32 v61, vcc_lo, s3, v59, vcc_lo
	s_clause 0x1
	global_load_b128 v[193:196], v237, s[8:9] offset:2560
	global_load_b128 v[13:16], v237, s[8:9] offset:3840
	v_add_co_u32 v62, vcc_lo, v60, s2
	s_wait_alu 0xfffd
	v_add_co_ci_u32_e32 v63, vcc_lo, s3, v61, vcc_lo
	s_clause 0x1
	global_load_b128 v[197:200], v237, s[8:9] offset:5120
	global_load_b128 v[17:20], v237, s[8:9] offset:6400
	v_add_co_u32 v85, vcc_lo, v62, s2
	s_wait_alu 0xfffd
	v_add_co_ci_u32_e32 v86, vcc_lo, s3, v63, vcc_lo
	s_mov_b32 s19, 0x3fd87de2
	s_delay_alu instid0(VALU_DEP_2) | instskip(SKIP_1) | instid1(VALU_DEP_2)
	v_add_co_u32 v89, vcc_lo, v85, s2
	s_wait_alu 0xfffd
	v_add_co_ci_u32_e32 v90, vcc_lo, s3, v86, vcc_lo
	s_mov_b32 s18, s16
	s_delay_alu instid0(VALU_DEP_2) | instskip(SKIP_1) | instid1(VALU_DEP_2)
	v_add_co_u32 v93, vcc_lo, v89, s2
	s_wait_alu 0xfffd
	v_add_co_ci_u32_e32 v94, vcc_lo, s3, v90, vcc_lo
	s_delay_alu instid0(VALU_DEP_2) | instskip(SKIP_1) | instid1(VALU_DEP_2)
	v_add_co_u32 v97, vcc_lo, v93, s2
	s_wait_alu 0xfffd
	v_add_co_ci_u32_e32 v98, vcc_lo, s3, v94, vcc_lo
	s_delay_alu instid0(VALU_DEP_1) | instskip(NEXT) | instid1(VALU_DEP_1)
	v_mad_co_u64_u32 v[101:102], null, 0xa00, s12, v[97:98]
	v_mov_b32_e32 v65, v102
	s_wait_loadcnt 0x5
	v_mad_co_u64_u32 v[24:25], null, s13, v6, v[8:9]
	s_delay_alu instid0(VALU_DEP_1)
	v_mov_b32_e32 v29, v24
	s_clause 0x1
	global_load_b128 v[32:35], v237, s[8:9] offset:7680
	global_load_b128 v[24:27], v237, s[8:9] offset:8960
	v_lshlrev_b64_e32 v[48:49], 4, v[28:29]
	s_clause 0x3
	global_load_b128 v[28:31], v237, s[8:9] offset:10240
	global_load_b128 v[36:39], v237, s[8:9] offset:11520
	global_load_b128 v[40:43], v237, s[8:9] offset:12800
	global_load_b128 v[44:47], v237, s[8:9] offset:14080
	v_add_co_u32 v66, vcc_lo, v0, v48
	s_wait_alu 0xfffd
	v_add_co_ci_u32_e32 v67, vcc_lo, v1, v49, vcc_lo
	s_clause 0x1
	global_load_b128 v[48:51], v237, s[8:9] offset:15360
	global_load_b128 v[52:55], v237, s[8:9] offset:16640
	v_mad_co_u64_u32 v[95:96], null, 0xa00, s13, v[65:66]
	s_clause 0x5
	global_load_b128 v[65:68], v[66:67], off
	global_load_b128 v[69:72], v[56:57], off
	global_load_b128 v[73:76], v[58:59], off
	global_load_b128 v[77:80], v[60:61], off
	global_load_b128 v[81:84], v[62:63], off
	global_load_b128 v[85:88], v[85:86], off
	global_load_b128 v[89:92], v[89:90], off
	v_add_co_u32 v56, vcc_lo, v101, s2
	global_load_b128 v[97:100], v[97:98], off
	s_mov_b32 s13, 0x3fe6a09e
	v_lshlrev_b16 v0, 4, v64
	v_mov_b32_e32 v102, v95
	global_load_b128 v[93:96], v[93:94], off
	v_and_b32_e32 v0, 0xffff, v0
	s_wait_alu 0xfffd
	v_add_co_ci_u32_e32 v57, vcc_lo, s3, v102, vcc_lo
	v_add_co_u32 v58, vcc_lo, v56, s2
	global_load_b128 v[101:104], v[101:102], off
	s_wait_alu 0xfffd
	v_add_co_ci_u32_e32 v59, vcc_lo, s3, v57, vcc_lo
	v_add_co_u32 v60, vcc_lo, v58, s2
	global_load_b128 v[105:108], v[56:57], off
	s_wait_alu 0xfffd
	v_add_co_ci_u32_e32 v61, vcc_lo, s3, v59, vcc_lo
	v_add_co_u32 v56, vcc_lo, v60, s2
	global_load_b128 v[109:112], v[58:59], off
	s_wait_alu 0xfffd
	v_add_co_ci_u32_e32 v57, vcc_lo, s3, v61, vcc_lo
	v_add_co_u32 v58, vcc_lo, v56, s2
	global_load_b128 v[113:116], v[60:61], off
	s_wait_alu 0xfffd
	v_add_co_ci_u32_e32 v59, vcc_lo, s3, v57, vcc_lo
	v_add_co_u32 v125, vcc_lo, v58, s2
	s_wait_alu 0xfffd
	s_delay_alu instid0(VALU_DEP_2)
	v_add_co_ci_u32_e32 v126, vcc_lo, s3, v59, vcc_lo
	global_load_b128 v[117:120], v[56:57], off
	global_load_b128 v[121:124], v[58:59], off
	s_clause 0x1
	global_load_b128 v[56:59], v237, s[8:9] offset:17920
	global_load_b128 v[60:63], v237, s[8:9] offset:19200
	global_load_b128 v[125:128], v[125:126], off
	scratch_store_b128 off, v[9:12], off offset:16 ; 16-byte Folded Spill
	s_wait_loadcnt 0x1e
	scratch_store_b128 off, v[2:5], off     ; 16-byte Folded Spill
	s_wait_loadcnt 0x1d
	scratch_store_b128 off, v[193:196], off offset:64 ; 16-byte Folded Spill
	s_wait_loadcnt 0x1b
	s_clause 0x1
	scratch_store_b128 off, v[197:200], off offset:80
	scratch_store_b128 off, v[13:16], off offset:32
	s_wait_loadcnt 0x1a
	scratch_store_b128 off, v[17:20], off offset:48 ; 16-byte Folded Spill
	s_load_b128 s[4:7], s[6:7], 0x0
	s_mov_b32 s2, 0x667f3bcd
	s_mov_b32 s3, 0xbfe6a09e
	s_wait_alu 0xfffe
	s_mov_b32 s12, s2
	v_cmp_gt_u16_e32 vcc_lo, 16, v64
	s_wait_loadcnt 0x11
	v_mul_f64_e32 v[133:134], v[67:68], v[30:31]
	s_wait_loadcnt 0x10
	v_mul_f64_e32 v[129:130], v[71:72], v[11:12]
	v_mul_f64_e32 v[131:132], v[69:70], v[11:12]
	s_wait_loadcnt 0xf
	v_mul_f64_e32 v[137:138], v[75:76], v[4:5]
	;; [unrolled: 3-line block ×7, first 2 shown]
	v_mul_f64_e32 v[159:160], v[93:94], v[34:35]
	v_mul_f64_e32 v[161:162], v[99:100], v[26:27]
	;; [unrolled: 1-line block ×4, first 2 shown]
	s_wait_loadcnt 0x8
	v_mul_f64_e32 v[165:166], v[103:104], v[38:39]
	v_mul_f64_e32 v[167:168], v[101:102], v[38:39]
	s_wait_loadcnt 0x7
	v_mul_f64_e32 v[169:170], v[107:108], v[42:43]
	v_mul_f64_e32 v[171:172], v[105:106], v[42:43]
	;; [unrolled: 3-line block ×4, first 2 shown]
	v_fma_f64 v[65:66], v[65:66], v[28:29], v[133:134]
	v_fma_f64 v[69:70], v[69:70], v[9:10], v[129:130]
	s_wait_loadcnt 0x4
	v_mul_f64_e32 v[181:182], v[119:120], v[54:55]
	v_mul_f64_e32 v[183:184], v[117:118], v[54:55]
	s_wait_loadcnt 0x2
	v_mul_f64_e32 v[185:186], v[123:124], v[58:59]
	v_mul_f64_e32 v[187:188], v[121:122], v[58:59]
	;; [unrolled: 3-line block ×3, first 2 shown]
	v_fma_f64 v[71:72], v[71:72], v[9:10], -v[131:132]
	v_fma_f64 v[73:74], v[73:74], v[2:3], v[137:138]
	v_fma_f64 v[75:76], v[75:76], v[2:3], -v[139:140]
	v_fma_f64 v[77:78], v[77:78], v[193:194], v[141:142]
	;; [unrolled: 2-line block ×7, first 2 shown]
	v_fma_f64 v[99:100], v[99:100], v[24:25], -v[163:164]
	v_fma_f64 v[67:68], v[67:68], v[28:29], -v[135:136]
	v_fma_f64 v[101:102], v[101:102], v[36:37], v[165:166]
	v_fma_f64 v[103:104], v[103:104], v[36:37], -v[167:168]
	v_fma_f64 v[105:106], v[105:106], v[40:41], v[169:170]
	;; [unrolled: 2-line block ×7, first 2 shown]
	v_fma_f64 v[127:128], v[127:128], v[60:61], -v[191:192]
	v_lshlrev_b32_e32 v190, 4, v0
	ds_store_b128 v237, v[69:72]
	ds_store_b128 v237, v[73:76] offset:1280
	ds_store_b128 v237, v[77:80] offset:2560
	;; [unrolled: 1-line block ×15, first 2 shown]
	global_wb scope:SCOPE_SE
	s_wait_storecnt_dscnt 0x0
	s_wait_kmcnt 0x0
	s_barrier_signal -1
	s_barrier_wait -1
	global_inv scope:SCOPE_SE
	ds_load_b128 v[65:68], v237 offset:10240
	ds_load_b128 v[69:72], v237
	ds_load_b128 v[73:76], v237 offset:5120
	ds_load_b128 v[77:80], v237 offset:15360
	;; [unrolled: 1-line block ×14, first 2 shown]
	global_wb scope:SCOPE_SE
	s_wait_dscnt 0x0
	s_barrier_signal -1
	s_barrier_wait -1
	global_inv scope:SCOPE_SE
	v_add_f64_e64 v[65:66], v[69:70], -v[65:66]
	v_add_f64_e64 v[67:68], v[71:72], -v[67:68]
	;; [unrolled: 1-line block ×16, first 2 shown]
	v_fma_f64 v[69:70], v[69:70], 2.0, -v[65:66]
	v_fma_f64 v[71:72], v[71:72], 2.0, -v[67:68]
	v_add_f64_e32 v[131:132], v[67:68], v[77:78]
	v_add_f64_e64 v[129:130], v[65:66], -v[79:80]
	v_fma_f64 v[73:74], v[73:74], 2.0, -v[77:78]
	v_fma_f64 v[75:76], v[75:76], 2.0, -v[79:80]
	v_add_f64_e32 v[135:136], v[87:88], v[93:94]
	v_add_f64_e64 v[133:134], v[85:86], -v[95:96]
	;; [unrolled: 4-line block ×3, first 2 shown]
	v_fma_f64 v[81:82], v[89:90], 2.0, -v[93:94]
	v_fma_f64 v[83:84], v[91:92], 2.0, -v[95:96]
	v_add_f64_e64 v[141:142], v[117:118], -v[127:128]
	v_add_f64_e32 v[143:144], v[119:120], v[125:126]
	v_fma_f64 v[89:90], v[97:98], 2.0, -v[101:102]
	v_fma_f64 v[91:92], v[99:100], 2.0, -v[103:104]
	;; [unrolled: 1-line block ×10, first 2 shown]
	v_add_f64_e64 v[73:74], v[69:70], -v[73:74]
	v_add_f64_e64 v[75:76], v[71:72], -v[75:76]
	v_fma_f64 v[87:88], v[87:88], 2.0, -v[135:136]
	v_fma_f64 v[85:86], v[85:86], 2.0, -v[133:134]
	s_wait_alu 0xfffe
	v_fma_f64 v[113:114], v[133:134], s[12:13], v[129:130]
	v_fma_f64 v[115:116], v[135:136], s[12:13], v[131:132]
	v_fma_f64 v[103:104], v[103:104], 2.0, -v[139:140]
	v_fma_f64 v[101:102], v[101:102], 2.0, -v[137:138]
	v_add_f64_e64 v[81:82], v[77:78], -v[81:82]
	v_add_f64_e64 v[83:84], v[79:80], -v[83:84]
	v_fma_f64 v[109:110], v[117:118], 2.0, -v[141:142]
	v_fma_f64 v[111:112], v[119:120], 2.0, -v[143:144]
	v_fma_f64 v[117:118], v[141:142], s[12:13], v[137:138]
	v_fma_f64 v[119:120], v[143:144], s[12:13], v[139:140]
	v_add_f64_e64 v[93:94], v[89:90], -v[93:94]
	v_add_f64_e64 v[95:96], v[91:92], -v[95:96]
	;; [unrolled: 1-line block ×4, first 2 shown]
	v_fma_f64 v[69:70], v[69:70], 2.0, -v[73:74]
	v_fma_f64 v[71:72], v[71:72], 2.0, -v[75:76]
	v_fma_f64 v[123:124], v[87:88], s[2:3], v[67:68]
	v_fma_f64 v[121:122], v[85:86], s[2:3], v[65:66]
	;; [unrolled: 1-line block ×4, first 2 shown]
	v_fma_f64 v[77:78], v[77:78], 2.0, -v[81:82]
	v_fma_f64 v[79:80], v[79:80], 2.0, -v[83:84]
	v_fma_f64 v[125:126], v[109:110], s[2:3], v[101:102]
	v_fma_f64 v[127:128], v[111:112], s[2:3], v[103:104]
	v_add_f64_e64 v[145:146], v[73:74], -v[83:84]
	v_add_f64_e32 v[147:148], v[75:76], v[81:82]
	v_fma_f64 v[117:118], v[143:144], s[2:3], v[117:118]
	v_fma_f64 v[119:120], v[141:142], s[12:13], v[119:120]
	v_fma_f64 v[89:90], v[89:90], 2.0, -v[93:94]
	v_fma_f64 v[91:92], v[91:92], 2.0, -v[95:96]
	v_add_f64_e64 v[81:82], v[93:94], -v[105:106]
	v_add_f64_e32 v[83:84], v[95:96], v[107:108]
	v_fma_f64 v[97:98], v[97:98], 2.0, -v[107:108]
	v_fma_f64 v[99:100], v[99:100], 2.0, -v[105:106]
	v_fma_f64 v[123:124], v[85:86], s[12:13], v[123:124]
	v_fma_f64 v[121:122], v[87:88], s[2:3], v[121:122]
	v_fma_f64 v[129:130], v[129:130], 2.0, -v[113:114]
	v_fma_f64 v[131:132], v[131:132], 2.0, -v[115:116]
	v_fma_f64 v[85:86], v[111:112], s[2:3], v[125:126]
	v_fma_f64 v[87:88], v[109:110], s[12:13], v[127:128]
	v_fma_f64 v[125:126], v[73:74], 2.0, -v[145:146]
	v_fma_f64 v[127:128], v[75:76], 2.0, -v[147:148]
	v_add_f64_e64 v[108:109], v[69:70], -v[77:78]
	v_add_f64_e64 v[110:111], v[71:72], -v[79:80]
	v_fma_f64 v[79:80], v[137:138], 2.0, -v[117:118]
	v_fma_f64 v[77:78], v[139:140], 2.0, -v[119:120]
	;; [unrolled: 1-line block ×4, first 2 shown]
	v_add_f64_e64 v[93:94], v[89:90], -v[97:98]
	v_add_f64_e64 v[105:106], v[91:92], -v[99:100]
	v_fma_f64 v[95:96], v[117:118], s[20:21], v[113:114]
	v_fma_f64 v[98:99], v[119:120], s[20:21], v[115:116]
	v_fma_f64 v[135:136], v[67:68], 2.0, -v[123:124]
	v_fma_f64 v[133:134], v[65:66], 2.0, -v[121:122]
	v_fma_f64 v[65:66], v[81:82], s[12:13], v[145:146]
	v_fma_f64 v[67:68], v[83:84], s[12:13], v[147:148]
	v_fma_f64 v[100:101], v[101:102], 2.0, -v[85:86]
	v_fma_f64 v[102:103], v[103:104], 2.0, -v[87:88]
	;; [unrolled: 4-line block ×3, first 2 shown]
	v_fma_f64 v[149:150], v[79:80], s[16:17], v[129:130]
	v_fma_f64 v[151:152], v[77:78], s[16:17], v[131:132]
	;; [unrolled: 1-line block ×4, first 2 shown]
	v_fma_f64 v[89:90], v[89:90], 2.0, -v[93:94]
	v_fma_f64 v[91:92], v[91:92], 2.0, -v[105:106]
	v_fma_f64 v[96:97], v[119:120], s[16:17], v[95:96]
	v_fma_f64 v[98:99], v[117:118], s[18:19], v[98:99]
	v_add_f64_e64 v[69:70], v[108:109], -v[105:106]
	v_add_f64_e32 v[71:72], v[110:111], v[93:94]
	v_fma_f64 v[65:66], v[83:84], s[2:3], v[65:66]
	v_fma_f64 v[67:68], v[81:82], s[12:13], v[67:68]
	;; [unrolled: 1-line block ×10, first 2 shown]
	v_add_f64_e64 v[85:86], v[137:138], -v[89:90]
	v_add_f64_e64 v[87:88], v[139:140], -v[91:92]
	v_fma_f64 v[104:105], v[113:114], 2.0, -v[96:97]
	v_fma_f64 v[106:107], v[115:116], 2.0, -v[98:99]
	;; [unrolled: 1-line block ×4, first 2 shown]
	v_add_co_u32 v168, s2, s8, v237
	s_wait_alu 0xf1ff
	v_add_co_ci_u32_e64 v169, null, s9, 0, s2
                                        ; implicit-def: $vgpr152_vgpr153
	v_fma_f64 v[89:90], v[102:103], s[16:17], v[157:158]
	v_fma_f64 v[91:92], v[100:101], s[18:19], v[159:160]
	v_fma_f64 v[100:101], v[145:146], 2.0, -v[65:66]
	v_fma_f64 v[102:103], v[147:148], 2.0, -v[67:68]
	;; [unrolled: 1-line block ×10, first 2 shown]
                                        ; implicit-def: $vgpr144_vgpr145
                                        ; implicit-def: $vgpr148_vgpr149
	v_fma_f64 v[128:129], v[133:134], 2.0, -v[89:90]
	v_fma_f64 v[130:131], v[135:136], 2.0, -v[91:92]
                                        ; implicit-def: $vgpr136_vgpr137
	ds_store_b128 v190, v[65:68] offset:224
	ds_store_b128 v190, v[96:99] offset:240
	;; [unrolled: 1-line block ×14, first 2 shown]
	ds_store_b128 v190, v[124:127]
	ds_store_b128 v190, v[128:131] offset:16
	global_wb scope:SCOPE_SE
	s_wait_dscnt 0x0
	s_barrier_signal -1
	s_barrier_wait -1
	global_inv scope:SCOPE_SE
	ds_load_b128 v[104:107], v237
	ds_load_b128 v[100:103], v237 offset:1280
	ds_load_b128 v[72:75], v237 offset:8192
	;; [unrolled: 1-line block ×14, first 2 shown]
	s_and_saveexec_b32 s2, vcc_lo
	s_cbranch_execz .LBB0_3
; %bb.2:
	ds_load_b128 v[96:99], v237 offset:3840
	ds_load_b128 v[136:139], v237 offset:7936
	;; [unrolled: 1-line block ×5, first 2 shown]
.LBB0_3:
	s_wait_alu 0xfffe
	s_or_b32 exec_lo, exec_lo, s2
	v_and_b32_e32 v191, 15, v255
	v_lshlrev_b32_e32 v0, 6, v255
	s_mov_b32 s14, 0x134454ff
	s_mov_b32 s15, 0x3fee6f0e
	;; [unrolled: 1-line block ×3, first 2 shown]
	v_lshlrev_b32_e32 v1, 6, v191
	v_and_b32_e32 v0, 0x3c0, v0
	s_wait_alu 0xfffe
	s_mov_b32 s16, s14
	s_mov_b32 s2, 0x4755a5e
	;; [unrolled: 1-line block ×3, first 2 shown]
	s_clause 0x1
	global_load_b64 v[235:236], v1, s[10:11]
	global_load_b128 v[64:67], v0, s[10:11]
	s_mov_b32 s13, 0xbfe2cf23
	s_wait_alu 0xfffe
	s_mov_b32 s12, s2
	s_mov_b32 s18, 0x372fe950
	;; [unrolled: 1-line block ×3, first 2 shown]
	s_wait_loadcnt_dscnt 0x8
	v_mul_f64_e32 v[76:77], v[70:71], v[66:67]
	s_delay_alu instid0(VALU_DEP_1)
	v_fma_f64 v[162:163], v[68:69], v[235:236], -v[76:77]
	v_mul_f64_e32 v[68:69], v[68:69], v[66:67]
	global_load_b128 v[76:79], v0, s[10:11] offset:8
	v_fma_f64 v[160:161], v[70:71], v[235:236], v[68:69]
	global_load_b128 v[68:71], v0, s[10:11] offset:16
	s_wait_loadcnt 0x0
	v_mul_f64_e32 v[84:85], v[74:75], v[70:71]
	s_delay_alu instid0(VALU_DEP_1)
	v_fma_f64 v[166:167], v[72:73], v[78:79], -v[84:85]
	v_mul_f64_e32 v[72:73], v[72:73], v[70:71]
	global_load_b128 v[84:87], v0, s[10:11] offset:24
	v_fma_f64 v[170:171], v[74:75], v[78:79], v[72:73]
	global_load_b128 v[72:75], v0, s[10:11] offset:32
	s_wait_loadcnt_dscnt 0x4
	v_mul_f64_e32 v[88:89], v[82:83], v[74:75]
	s_delay_alu instid0(VALU_DEP_1)
	v_fma_f64 v[176:177], v[80:81], v[86:87], -v[88:89]
	v_mul_f64_e32 v[80:81], v[80:81], v[74:75]
	global_load_b128 v[88:91], v0, s[10:11] offset:40
	v_add_f64_e64 v[194:195], v[166:167], -v[176:177]
	v_fma_f64 v[172:173], v[82:83], v[86:87], v[80:81]
	s_clause 0x1
	global_load_b128 v[80:83], v0, s[10:11] offset:48
	global_load_b64 v[0:1], v0, s[10:11] offset:56
	s_wait_loadcnt 0x1
	v_mul_f64_e32 v[164:165], v[156:157], v[82:83]
	s_wait_loadcnt 0x0
	scratch_store_b64 off, v[0:1], off offset:112 ; 8-byte Folded Spill
	global_wb scope:SCOPE_SE
	s_wait_storecnt_dscnt 0x0
	s_barrier_signal -1
	s_barrier_wait -1
	global_inv scope:SCOPE_SE
	v_fma_f64 v[186:187], v[158:159], v[90:91], v[164:165]
	v_mul_f64_e32 v[158:159], v[158:159], v[82:83]
	s_delay_alu instid0(VALU_DEP_1) | instskip(SKIP_1) | instid1(VALU_DEP_1)
	v_fma_f64 v[192:193], v[156:157], v[90:91], -v[158:159]
	v_mul_f64_e32 v[156:157], v[142:143], v[66:67]
	v_fma_f64 v[164:165], v[140:141], v[235:236], -v[156:157]
	v_mul_f64_e32 v[140:141], v[140:141], v[66:67]
	s_delay_alu instid0(VALU_DEP_1) | instskip(SKIP_1) | instid1(VALU_DEP_1)
	v_fma_f64 v[158:159], v[142:143], v[235:236], v[140:141]
	v_mul_f64_e32 v[140:141], v[130:131], v[70:71]
	v_fma_f64 v[180:181], v[128:129], v[78:79], -v[140:141]
	v_mul_f64_e32 v[128:129], v[128:129], v[70:71]
	s_delay_alu instid0(VALU_DEP_1) | instskip(SKIP_1) | instid1(VALU_DEP_1)
	v_fma_f64 v[182:183], v[130:131], v[78:79], v[128:129]
	;; [unrolled: 5-line block ×3, first 2 shown]
	v_mul_f64_e32 v[128:129], v[120:121], v[82:83]
	v_fma_f64 v[184:185], v[122:123], v[90:91], v[128:129]
	v_mul_f64_e32 v[122:123], v[122:123], v[82:83]
	s_delay_alu instid0(VALU_DEP_1) | instskip(SKIP_1) | instid1(VALU_DEP_1)
	v_fma_f64 v[188:189], v[120:121], v[90:91], -v[122:123]
	v_mul_f64_e32 v[120:121], v[126:127], v[66:67]
	v_fma_f64 v[142:143], v[124:125], v[235:236], -v[120:121]
	v_mul_f64_e32 v[120:121], v[124:125], v[66:67]
	s_delay_alu instid0(VALU_DEP_1) | instskip(SKIP_1) | instid1(VALU_DEP_1)
	v_fma_f64 v[140:141], v[126:127], v[235:236], v[120:121]
	v_mul_f64_e32 v[120:121], v[118:119], v[70:71]
	v_fma_f64 v[156:157], v[116:117], v[78:79], -v[120:121]
	v_mul_f64_e32 v[116:117], v[116:117], v[70:71]
	s_delay_alu instid0(VALU_DEP_2) | instskip(NEXT) | instid1(VALU_DEP_2)
	v_add_f64_e64 v[196:197], v[156:157], -v[142:143]
	v_fma_f64 v[118:119], v[118:119], v[78:79], v[116:117]
	v_mul_f64_e32 v[116:117], v[114:115], v[74:75]
	s_delay_alu instid0(VALU_DEP_1) | instskip(SKIP_1) | instid1(VALU_DEP_1)
	v_fma_f64 v[116:117], v[112:113], v[86:87], -v[116:117]
	v_mul_f64_e32 v[112:113], v[112:113], v[74:75]
	v_fma_f64 v[112:113], v[114:115], v[86:87], v[112:113]
	v_mul_f64_e32 v[114:115], v[110:111], v[82:83]
	s_delay_alu instid0(VALU_DEP_1) | instskip(SKIP_1) | instid1(VALU_DEP_1)
	v_fma_f64 v[114:115], v[108:109], v[90:91], -v[114:115]
	v_mul_f64_e32 v[108:109], v[108:109], v[82:83]
	v_fma_f64 v[108:109], v[110:111], v[90:91], v[108:109]
	v_mul_f64_e32 v[110:111], v[138:139], v[76:77]
	s_delay_alu instid0(VALU_DEP_1) | instskip(SKIP_2) | instid1(VALU_DEP_2)
	v_fma_f64 v[120:121], v[136:137], v[64:65], -v[110:111]
	v_mul_f64_e32 v[110:111], v[136:137], v[76:77]
	v_add_f64_e64 v[136:137], v[192:193], -v[176:177]
	v_fma_f64 v[132:133], v[138:139], v[64:65], v[110:111]
	v_mul_f64_e32 v[110:111], v[146:147], v[84:85]
	v_add_f64_e64 v[138:139], v[186:187], -v[172:173]
	s_delay_alu instid0(VALU_DEP_2) | instskip(SKIP_1) | instid1(VALU_DEP_1)
	v_fma_f64 v[122:123], v[144:145], v[68:69], -v[110:111]
	v_mul_f64_e32 v[110:111], v[144:145], v[84:85]
	v_fma_f64 v[126:127], v[146:147], v[68:69], v[110:111]
	v_mul_f64_e32 v[110:111], v[150:151], v[88:89]
	s_delay_alu instid0(VALU_DEP_1) | instskip(SKIP_1) | instid1(VALU_DEP_1)
	v_fma_f64 v[124:125], v[148:149], v[72:73], -v[110:111]
	v_mul_f64_e32 v[110:111], v[148:149], v[88:89]
	v_fma_f64 v[128:129], v[150:151], v[72:73], v[110:111]
	v_mul_f64_e32 v[110:111], v[154:155], v[0:1]
	v_add_f64_e64 v[150:151], v[160:161], -v[186:187]
	s_delay_alu instid0(VALU_DEP_2) | instskip(SKIP_3) | instid1(VALU_DEP_1)
	v_fma_f64 v[130:131], v[152:153], v[80:81], -v[110:111]
	v_mul_f64_e32 v[110:111], v[152:153], v[0:1]
	v_add_f64_e64 v[152:153], v[170:171], -v[172:173]
	v_lshrrev_b32_e32 v0, 4, v255
	v_mul_u32_u24_e32 v0, 0x50, v0
	s_delay_alu instid0(VALU_DEP_1) | instskip(NEXT) | instid1(VALU_DEP_1)
	v_or_b32_e32 v0, v0, v191
	v_lshlrev_b32_e32 v242, 4, v0
	v_add_nc_u32_e32 v0, 0x50, v255
	s_delay_alu instid0(VALU_DEP_1) | instskip(NEXT) | instid1(VALU_DEP_1)
	v_lshrrev_b32_e32 v0, 4, v0
	v_mul_u32_u24_e32 v0, 0x50, v0
	s_delay_alu instid0(VALU_DEP_1) | instskip(SKIP_3) | instid1(VALU_DEP_4)
	v_or_b32_e32 v0, v0, v191
	v_fma_f64 v[134:135], v[154:155], v[80:81], v[110:111]
	v_add_f64_e64 v[110:111], v[162:163], -v[166:167]
	v_add_f64_e64 v[154:155], v[162:163], -v[192:193]
	v_lshlrev_b32_e32 v241, 4, v0
	v_add_nc_u32_e32 v0, 0xa0, v255
	s_delay_alu instid0(VALU_DEP_1) | instskip(NEXT) | instid1(VALU_DEP_1)
	v_lshrrev_b32_e32 v0, 4, v0
	v_mul_u32_u24_e32 v0, 0x50, v0
	s_delay_alu instid0(VALU_DEP_1) | instskip(NEXT) | instid1(VALU_DEP_1)
	v_or_b32_e32 v0, v0, v191
	v_lshlrev_b32_e32 v240, 4, v0
	v_add_f64_e64 v[200:201], v[128:129], -v[134:135]
	v_add_f64_e32 v[110:111], v[110:111], v[136:137]
	v_add_f64_e64 v[136:137], v[160:161], -v[170:171]
	s_delay_alu instid0(VALU_DEP_1) | instskip(SKIP_1) | instid1(VALU_DEP_1)
	v_add_f64_e32 v[146:147], v[136:137], v[138:139]
	v_add_f64_e32 v[136:137], v[166:167], v[176:177]
	v_fma_f64 v[144:145], v[136:137], -0.5, v[104:105]
	v_add_f64_e32 v[136:137], v[170:171], v[172:173]
	s_delay_alu instid0(VALU_DEP_1) | instskip(NEXT) | instid1(VALU_DEP_3)
	v_fma_f64 v[148:149], v[136:137], -0.5, v[106:107]
	v_fma_f64 v[136:137], v[150:151], s[14:15], v[144:145]
	v_fma_f64 v[144:145], v[150:151], s[16:17], v[144:145]
	s_delay_alu instid0(VALU_DEP_3) | instskip(SKIP_1) | instid1(VALU_DEP_4)
	v_fma_f64 v[138:139], v[154:155], s[16:17], v[148:149]
	v_fma_f64 v[148:149], v[154:155], s[14:15], v[148:149]
	;; [unrolled: 1-line block ×3, first 2 shown]
	s_wait_alu 0xfffe
	s_delay_alu instid0(VALU_DEP_4) | instskip(NEXT) | instid1(VALU_DEP_4)
	v_fma_f64 v[144:145], v[152:153], s[12:13], v[144:145]
	v_fma_f64 v[138:139], v[194:195], s[12:13], v[138:139]
	s_delay_alu instid0(VALU_DEP_4) | instskip(NEXT) | instid1(VALU_DEP_4)
	v_fma_f64 v[148:149], v[194:195], s[2:3], v[148:149]
	v_fma_f64 v[136:137], v[110:111], s[18:19], v[136:137]
	s_delay_alu instid0(VALU_DEP_4) | instskip(SKIP_4) | instid1(VALU_DEP_4)
	v_fma_f64 v[144:145], v[110:111], s[18:19], v[144:145]
	v_add_f64_e32 v[110:111], v[162:163], v[192:193]
	v_fma_f64 v[138:139], v[146:147], s[18:19], v[138:139]
	v_fma_f64 v[146:147], v[146:147], s[18:19], v[148:149]
	v_add_f64_e32 v[148:149], v[160:161], v[186:187]
	v_fma_f64 v[110:111], v[110:111], -0.5, v[104:105]
	v_add_f64_e32 v[104:105], v[104:105], v[162:163]
	v_add_f64_e64 v[162:163], v[166:167], -v[162:163]
	s_delay_alu instid0(VALU_DEP_4) | instskip(SKIP_4) | instid1(VALU_DEP_4)
	v_fma_f64 v[148:149], v[148:149], -0.5, v[106:107]
	v_add_f64_e32 v[106:107], v[106:107], v[160:161]
	v_add_f64_e64 v[160:161], v[170:171], -v[160:161]
	v_add_f64_e32 v[104:105], v[104:105], v[166:167]
	v_add_f64_e64 v[166:167], v[176:177], -v[192:193]
	;; [unrolled: 2-line block ×3, first 2 shown]
	s_delay_alu instid0(VALU_DEP_4) | instskip(NEXT) | instid1(VALU_DEP_4)
	v_add_f64_e32 v[104:105], v[104:105], v[176:177]
	v_add_f64_e32 v[162:163], v[162:163], v[166:167]
	v_add_f64_e64 v[176:177], v[158:159], -v[184:185]
	v_add_f64_e32 v[106:107], v[106:107], v[172:173]
	v_fma_f64 v[172:173], v[152:153], s[16:17], v[110:111]
	v_fma_f64 v[110:111], v[152:153], s[14:15], v[110:111]
	v_fma_f64 v[152:153], v[194:195], s[14:15], v[148:149]
	v_fma_f64 v[148:149], v[194:195], s[16:17], v[148:149]
	v_add_f64_e32 v[160:161], v[160:161], v[170:171]
	v_add_f64_e32 v[104:105], v[104:105], v[192:193]
	v_add_f64_e64 v[192:193], v[164:165], -v[188:189]
	v_add_f64_e64 v[194:195], v[180:181], -v[178:179]
	v_add_f64_e32 v[106:107], v[106:107], v[186:187]
	v_fma_f64 v[166:167], v[150:151], s[2:3], v[172:173]
	v_fma_f64 v[110:111], v[150:151], s[12:13], v[110:111]
	;; [unrolled: 1-line block ×4, first 2 shown]
	v_add_f64_e64 v[186:187], v[182:183], -v[174:175]
	v_fma_f64 v[148:149], v[162:163], s[18:19], v[166:167]
	v_fma_f64 v[152:153], v[162:163], s[18:19], v[110:111]
	v_fma_f64 v[150:151], v[160:161], s[18:19], v[150:151]
	v_fma_f64 v[154:155], v[160:161], s[18:19], v[154:155]
	v_add_f64_e64 v[110:111], v[164:165], -v[180:181]
	v_add_f64_e64 v[160:161], v[188:189], -v[178:179]
	;; [unrolled: 1-line block ×3, first 2 shown]
	ds_store_b128 v242, v[104:107]
	ds_store_b128 v242, v[136:139] offset:256
	ds_store_b128 v242, v[148:151] offset:512
	ds_store_b128 v242, v[152:155] offset:768
	ds_store_b128 v242, v[144:147] offset:1024
	v_add_f64_e32 v[110:111], v[110:111], v[160:161]
	v_add_f64_e64 v[160:161], v[158:159], -v[182:183]
	s_delay_alu instid0(VALU_DEP_1) | instskip(SKIP_1) | instid1(VALU_DEP_1)
	v_add_f64_e32 v[166:167], v[160:161], v[162:163]
	v_add_f64_e32 v[160:161], v[180:181], v[178:179]
	v_fma_f64 v[170:171], v[160:161], -0.5, v[100:101]
	v_add_f64_e32 v[160:161], v[182:183], v[174:175]
	s_delay_alu instid0(VALU_DEP_1) | instskip(NEXT) | instid1(VALU_DEP_3)
	v_fma_f64 v[172:173], v[160:161], -0.5, v[102:103]
	v_fma_f64 v[160:161], v[176:177], s[14:15], v[170:171]
	v_fma_f64 v[170:171], v[176:177], s[16:17], v[170:171]
	s_delay_alu instid0(VALU_DEP_3) | instskip(SKIP_1) | instid1(VALU_DEP_4)
	v_fma_f64 v[162:163], v[192:193], s[16:17], v[172:173]
	v_fma_f64 v[172:173], v[192:193], s[14:15], v[172:173]
	;; [unrolled: 1-line block ×3, first 2 shown]
	s_delay_alu instid0(VALU_DEP_4) | instskip(NEXT) | instid1(VALU_DEP_4)
	v_fma_f64 v[170:171], v[186:187], s[12:13], v[170:171]
	v_fma_f64 v[162:163], v[194:195], s[12:13], v[162:163]
	s_delay_alu instid0(VALU_DEP_4) | instskip(NEXT) | instid1(VALU_DEP_4)
	v_fma_f64 v[172:173], v[194:195], s[2:3], v[172:173]
	v_fma_f64 v[160:161], v[110:111], s[18:19], v[160:161]
	s_delay_alu instid0(VALU_DEP_4) | instskip(SKIP_4) | instid1(VALU_DEP_4)
	v_fma_f64 v[170:171], v[110:111], s[18:19], v[170:171]
	v_add_f64_e32 v[110:111], v[164:165], v[188:189]
	v_fma_f64 v[162:163], v[166:167], s[18:19], v[162:163]
	v_fma_f64 v[172:173], v[166:167], s[18:19], v[172:173]
	v_add_f64_e32 v[166:167], v[158:159], v[184:185]
	v_fma_f64 v[110:111], v[110:111], -0.5, v[100:101]
	v_add_f64_e32 v[100:101], v[100:101], v[164:165]
	v_add_f64_e64 v[164:165], v[180:181], -v[164:165]
	s_delay_alu instid0(VALU_DEP_4)
	v_fma_f64 v[166:167], v[166:167], -0.5, v[102:103]
	v_add_f64_e32 v[102:103], v[102:103], v[158:159]
	v_add_f64_e64 v[158:159], v[182:183], -v[158:159]
	v_add_f64_e32 v[100:101], v[100:101], v[180:181]
	v_fma_f64 v[180:181], v[186:187], s[16:17], v[110:111]
	v_fma_f64 v[110:111], v[186:187], s[14:15], v[110:111]
	v_add_f64_e64 v[186:187], v[140:141], -v[108:109]
	v_add_f64_e32 v[102:103], v[102:103], v[182:183]
	v_fma_f64 v[182:183], v[194:195], s[14:15], v[166:167]
	v_add_f64_e32 v[100:101], v[100:101], v[178:179]
	v_add_f64_e64 v[178:179], v[178:179], -v[188:189]
	v_fma_f64 v[166:167], v[194:195], s[16:17], v[166:167]
	v_fma_f64 v[110:111], v[176:177], s[12:13], v[110:111]
	v_add_f64_e64 v[194:195], v[156:157], -v[116:117]
	v_add_f64_e32 v[102:103], v[102:103], v[174:175]
	v_add_f64_e64 v[174:175], v[174:175], -v[184:185]
	v_add_f64_e32 v[100:101], v[100:101], v[188:189]
	v_add_f64_e32 v[178:179], v[164:165], v[178:179]
	v_fma_f64 v[164:165], v[176:177], s[2:3], v[180:181]
	v_fma_f64 v[176:177], v[192:193], s[2:3], v[166:167]
	v_add_f64_e64 v[188:189], v[118:119], -v[112:113]
	v_add_f64_e32 v[102:103], v[102:103], v[184:185]
	v_add_f64_e32 v[158:159], v[158:159], v[174:175]
	v_fma_f64 v[174:175], v[192:193], s[12:13], v[182:183]
	v_add_f64_e64 v[192:193], v[142:143], -v[114:115]
	v_fma_f64 v[164:165], v[178:179], s[18:19], v[164:165]
	s_delay_alu instid0(VALU_DEP_4) | instskip(NEXT) | instid1(VALU_DEP_4)
	v_fma_f64 v[176:177], v[158:159], s[18:19], v[176:177]
	v_fma_f64 v[166:167], v[158:159], s[18:19], v[174:175]
	;; [unrolled: 1-line block ×3, first 2 shown]
	v_add_f64_e64 v[110:111], v[142:143], -v[156:157]
	v_add_f64_e64 v[158:159], v[114:115], -v[116:117]
	;; [unrolled: 1-line block ×3, first 2 shown]
	ds_store_b128 v241, v[100:103]
	ds_store_b128 v241, v[160:163] offset:256
	ds_store_b128 v241, v[164:167] offset:512
	;; [unrolled: 1-line block ×4, first 2 shown]
	v_add_f64_e32 v[110:111], v[110:111], v[158:159]
	v_add_f64_e64 v[158:159], v[140:141], -v[118:119]
	s_delay_alu instid0(VALU_DEP_1) | instskip(SKIP_1) | instid1(VALU_DEP_1)
	v_add_f64_e32 v[158:159], v[158:159], v[178:179]
	v_add_f64_e32 v[178:179], v[156:157], v[116:117]
	v_fma_f64 v[182:183], v[178:179], -0.5, v[92:93]
	v_add_f64_e32 v[178:179], v[118:119], v[112:113]
	s_delay_alu instid0(VALU_DEP_1) | instskip(NEXT) | instid1(VALU_DEP_3)
	v_fma_f64 v[184:185], v[178:179], -0.5, v[94:95]
	v_fma_f64 v[178:179], v[186:187], s[14:15], v[182:183]
	v_fma_f64 v[182:183], v[186:187], s[16:17], v[182:183]
	s_delay_alu instid0(VALU_DEP_3) | instskip(SKIP_1) | instid1(VALU_DEP_4)
	v_fma_f64 v[180:181], v[192:193], s[16:17], v[184:185]
	v_fma_f64 v[184:185], v[192:193], s[14:15], v[184:185]
	;; [unrolled: 1-line block ×3, first 2 shown]
	s_delay_alu instid0(VALU_DEP_4) | instskip(NEXT) | instid1(VALU_DEP_4)
	v_fma_f64 v[182:183], v[188:189], s[12:13], v[182:183]
	v_fma_f64 v[180:181], v[194:195], s[12:13], v[180:181]
	s_delay_alu instid0(VALU_DEP_4) | instskip(NEXT) | instid1(VALU_DEP_4)
	v_fma_f64 v[184:185], v[194:195], s[2:3], v[184:185]
	v_fma_f64 v[178:179], v[110:111], s[18:19], v[178:179]
	s_delay_alu instid0(VALU_DEP_4) | instskip(SKIP_4) | instid1(VALU_DEP_4)
	v_fma_f64 v[182:183], v[110:111], s[18:19], v[182:183]
	v_add_f64_e32 v[110:111], v[142:143], v[114:115]
	v_fma_f64 v[180:181], v[158:159], s[18:19], v[180:181]
	v_fma_f64 v[184:185], v[158:159], s[18:19], v[184:185]
	v_add_f64_e32 v[158:159], v[140:141], v[108:109]
	v_fma_f64 v[110:111], v[110:111], -0.5, v[92:93]
	v_add_f64_e32 v[92:93], v[92:93], v[142:143]
	s_delay_alu instid0(VALU_DEP_3) | instskip(SKIP_1) | instid1(VALU_DEP_3)
	v_fma_f64 v[158:159], v[158:159], -0.5, v[94:95]
	v_add_f64_e32 v[94:95], v[94:95], v[140:141]
	v_add_f64_e32 v[92:93], v[92:93], v[156:157]
	s_delay_alu instid0(VALU_DEP_2) | instskip(SKIP_1) | instid1(VALU_DEP_3)
	v_add_f64_e32 v[94:95], v[94:95], v[118:119]
	v_add_f64_e64 v[118:119], v[118:119], -v[140:141]
	v_add_f64_e32 v[92:93], v[92:93], v[116:117]
	v_add_f64_e64 v[116:117], v[116:117], -v[114:115]
	s_delay_alu instid0(VALU_DEP_4) | instskip(NEXT) | instid1(VALU_DEP_3)
	v_add_f64_e32 v[94:95], v[94:95], v[112:113]
	v_add_f64_e32 v[140:141], v[92:93], v[114:115]
	v_add_f64_e64 v[92:93], v[112:113], -v[108:109]
	v_fma_f64 v[112:113], v[194:195], s[16:17], v[158:159]
	v_add_f64_e32 v[114:115], v[196:197], v[116:117]
	v_add_f64_e64 v[116:117], v[132:133], -v[134:135]
	v_add_f64_e32 v[142:143], v[94:95], v[108:109]
	v_fma_f64 v[94:95], v[188:189], s[16:17], v[110:111]
	v_fma_f64 v[108:109], v[188:189], s[14:15], v[110:111]
	;; [unrolled: 1-line block ×3, first 2 shown]
	v_add_f64_e32 v[92:93], v[118:119], v[92:93]
	v_fma_f64 v[112:113], v[192:193], s[2:3], v[112:113]
	v_add_f64_e64 v[118:119], v[126:127], -v[128:129]
	v_add_f64_e64 v[194:195], v[122:123], -v[124:125]
	v_fma_f64 v[94:95], v[186:187], s[2:3], v[94:95]
	v_fma_f64 v[108:109], v[186:187], s[12:13], v[108:109]
	;; [unrolled: 1-line block ×3, first 2 shown]
	v_add_f64_e64 v[192:193], v[120:121], -v[130:131]
	v_fma_f64 v[188:189], v[92:93], s[18:19], v[112:113]
	v_fma_f64 v[156:157], v[114:115], s[18:19], v[94:95]
	v_add_f64_e64 v[94:95], v[130:131], -v[124:125]
	v_fma_f64 v[158:159], v[92:93], s[18:19], v[110:111]
	v_add_f64_e64 v[92:93], v[120:121], -v[122:123]
	v_fma_f64 v[186:187], v[114:115], s[18:19], v[108:109]
	ds_store_b128 v240, v[140:143]
	ds_store_b128 v240, v[178:181] offset:256
	ds_store_b128 v240, v[156:159] offset:512
	;; [unrolled: 1-line block ×4, first 2 shown]
	v_add_f64_e32 v[108:109], v[92:93], v[94:95]
	v_add_f64_e64 v[92:93], v[132:133], -v[126:127]
	v_add_f64_e64 v[94:95], v[134:135], -v[128:129]
	s_delay_alu instid0(VALU_DEP_1) | instskip(SKIP_1) | instid1(VALU_DEP_1)
	v_add_f64_e32 v[110:111], v[92:93], v[94:95]
	v_add_f64_e32 v[92:93], v[122:123], v[124:125]
	v_fma_f64 v[112:113], v[92:93], -0.5, v[96:97]
	v_add_f64_e32 v[92:93], v[126:127], v[128:129]
	s_delay_alu instid0(VALU_DEP_1) | instskip(NEXT) | instid1(VALU_DEP_3)
	v_fma_f64 v[114:115], v[92:93], -0.5, v[98:99]
	v_fma_f64 v[92:93], v[116:117], s[14:15], v[112:113]
	v_fma_f64 v[112:113], v[116:117], s[16:17], v[112:113]
	s_delay_alu instid0(VALU_DEP_3) | instskip(SKIP_1) | instid1(VALU_DEP_4)
	v_fma_f64 v[94:95], v[192:193], s[16:17], v[114:115]
	v_fma_f64 v[114:115], v[192:193], s[14:15], v[114:115]
	;; [unrolled: 1-line block ×3, first 2 shown]
	s_delay_alu instid0(VALU_DEP_4) | instskip(NEXT) | instid1(VALU_DEP_4)
	v_fma_f64 v[112:113], v[118:119], s[12:13], v[112:113]
	v_fma_f64 v[94:95], v[194:195], s[12:13], v[94:95]
	s_delay_alu instid0(VALU_DEP_4) | instskip(NEXT) | instid1(VALU_DEP_4)
	v_fma_f64 v[114:115], v[194:195], s[2:3], v[114:115]
	v_fma_f64 v[92:93], v[108:109], s[18:19], v[92:93]
	s_delay_alu instid0(VALU_DEP_4) | instskip(SKIP_4) | instid1(VALU_DEP_1)
	v_fma_f64 v[108:109], v[108:109], s[18:19], v[112:113]
	v_add_f64_e64 v[112:113], v[122:123], -v[120:121]
	v_fma_f64 v[94:95], v[110:111], s[18:19], v[94:95]
	v_fma_f64 v[110:111], v[110:111], s[18:19], v[114:115]
	v_add_f64_e64 v[114:115], v[124:125], -v[130:131]
	v_add_f64_e32 v[196:197], v[112:113], v[114:115]
	v_add_f64_e32 v[112:113], v[120:121], v[130:131]
	s_delay_alu instid0(VALU_DEP_1) | instskip(NEXT) | instid1(VALU_DEP_1)
	v_fma_f64 v[112:113], v[112:113], -0.5, v[96:97]
	v_fma_f64 v[114:115], v[118:119], s[16:17], v[112:113]
	v_fma_f64 v[112:113], v[118:119], s[14:15], v[112:113]
	v_add_f64_e32 v[118:119], v[132:133], v[134:135]
	s_delay_alu instid0(VALU_DEP_3) | instskip(NEXT) | instid1(VALU_DEP_3)
	v_fma_f64 v[114:115], v[116:117], s[2:3], v[114:115]
	v_fma_f64 v[116:117], v[116:117], s[12:13], v[112:113]
	s_delay_alu instid0(VALU_DEP_3) | instskip(NEXT) | instid1(VALU_DEP_3)
	v_fma_f64 v[118:119], v[118:119], -0.5, v[98:99]
	v_fma_f64 v[112:113], v[196:197], s[18:19], v[114:115]
	s_delay_alu instid0(VALU_DEP_3) | instskip(NEXT) | instid1(VALU_DEP_3)
	v_fma_f64 v[116:117], v[196:197], s[18:19], v[116:117]
	v_fma_f64 v[198:199], v[194:195], s[14:15], v[118:119]
	;; [unrolled: 1-line block ×3, first 2 shown]
	v_add_f64_e64 v[194:195], v[126:127], -v[132:133]
	s_delay_alu instid0(VALU_DEP_3) | instskip(NEXT) | instid1(VALU_DEP_3)
	v_fma_f64 v[198:199], v[192:193], s[12:13], v[198:199]
	v_fma_f64 v[118:119], v[192:193], s[2:3], v[118:119]
	s_delay_alu instid0(VALU_DEP_3) | instskip(NEXT) | instid1(VALU_DEP_1)
	v_add_f64_e32 v[194:195], v[194:195], v[200:201]
	v_fma_f64 v[114:115], v[194:195], s[18:19], v[198:199]
	s_delay_alu instid0(VALU_DEP_3)
	v_fma_f64 v[118:119], v[194:195], s[18:19], v[118:119]
	s_and_saveexec_b32 s2, vcc_lo
	s_cbranch_execz .LBB0_5
; %bb.4:
	v_add_f64_e32 v[98:99], v[98:99], v[132:133]
	v_add_f64_e32 v[96:97], v[96:97], v[120:121]
	s_delay_alu instid0(VALU_DEP_2) | instskip(NEXT) | instid1(VALU_DEP_2)
	v_add_f64_e32 v[98:99], v[98:99], v[126:127]
	v_add_f64_e32 v[96:97], v[96:97], v[122:123]
	s_delay_alu instid0(VALU_DEP_2) | instskip(NEXT) | instid1(VALU_DEP_2)
	;; [unrolled: 3-line block ×3, first 2 shown]
	v_add_f64_e32 v[98:99], v[98:99], v[134:135]
	v_add_f64_e32 v[96:97], v[96:97], v[130:131]
	ds_store_b128 v237, v[112:115] offset:19712
	ds_store_b128 v237, v[116:119] offset:19968
	;; [unrolled: 1-line block ×5, first 2 shown]
.LBB0_5:
	s_wait_alu 0xfffe
	s_or_b32 exec_lo, exec_lo, s2
	v_mad_co_u64_u32 v[170:171], null, 0xf0, v255, s[10:11]
	global_wb scope:SCOPE_SE
	s_wait_dscnt 0x0
	s_barrier_signal -1
	s_barrier_wait -1
	global_inv scope:SCOPE_SE
	s_mov_b32 s2, 0x667f3bcd
	s_mov_b32 s3, 0xbfe6a09e
	s_clause 0x2
	global_load_b128 v[104:107], v[170:171], off offset:1024
	global_load_b128 v[100:103], v[170:171], off offset:1040
	;; [unrolled: 1-line block ×3, first 2 shown]
	ds_load_b128 v[120:123], v237 offset:1280
	ds_load_b128 v[124:127], v237 offset:2560
	s_mov_b32 s11, 0x3fe6a09e
	s_wait_alu 0xfffe
	s_mov_b32 s10, s2
	s_mov_b32 s14, 0xcf328d46
	;; [unrolled: 1-line block ×4, first 2 shown]
	s_wait_alu 0xfffe
	s_mov_b32 s18, s14
	s_mov_b32 s12, 0xa6aea964
	;; [unrolled: 1-line block ×4, first 2 shown]
	s_wait_alu 0xfffe
	s_mov_b32 s16, s12
	s_add_nc_u64 s[8:9], s[8:9], 0x5000
	s_wait_loadcnt_dscnt 0x201
	v_mul_f64_e32 v[128:129], v[122:123], v[106:107]
	v_mul_f64_e32 v[130:131], v[120:121], v[106:107]
	s_wait_loadcnt_dscnt 0x100
	v_mul_f64_e32 v[132:133], v[126:127], v[102:103]
	v_mul_f64_e32 v[134:135], v[124:125], v[102:103]
	s_delay_alu instid0(VALU_DEP_4) | instskip(NEXT) | instid1(VALU_DEP_4)
	v_fma_f64 v[174:175], v[120:121], v[104:105], -v[128:129]
	v_fma_f64 v[176:177], v[122:123], v[104:105], v[130:131]
	ds_load_b128 v[120:123], v237 offset:3840
	v_fma_f64 v[178:179], v[124:125], v[100:101], -v[132:133]
	v_fma_f64 v[180:181], v[126:127], v[100:101], v[134:135]
	s_wait_loadcnt_dscnt 0x0
	v_mul_f64_e32 v[128:129], v[122:123], v[98:99]
	v_mul_f64_e32 v[124:125], v[120:121], v[98:99]
	s_delay_alu instid0(VALU_DEP_2) | instskip(NEXT) | instid1(VALU_DEP_2)
	v_fma_f64 v[182:183], v[120:121], v[96:97], -v[128:129]
	v_fma_f64 v[184:185], v[122:123], v[96:97], v[124:125]
	global_load_b128 v[120:123], v[170:171], off offset:1072
	ds_load_b128 v[124:127], v237 offset:5120
	s_wait_loadcnt_dscnt 0x0
	v_mul_f64_e32 v[128:129], v[126:127], v[122:123]
	s_delay_alu instid0(VALU_DEP_1)
	v_fma_f64 v[186:187], v[124:125], v[120:121], -v[128:129]
	v_mul_f64_e32 v[124:125], v[124:125], v[122:123]
	ds_load_b128 v[128:131], v237 offset:6400
	v_fma_f64 v[188:189], v[126:127], v[120:121], v[124:125]
	global_load_b128 v[124:127], v[170:171], off offset:1088
	s_wait_loadcnt_dscnt 0x0
	v_mul_f64_e32 v[132:133], v[130:131], v[126:127]
	s_delay_alu instid0(VALU_DEP_1)
	v_fma_f64 v[191:192], v[128:129], v[124:125], -v[132:133]
	v_mul_f64_e32 v[128:129], v[128:129], v[126:127]
	ds_load_b128 v[132:135], v237 offset:7680
	v_fma_f64 v[193:194], v[130:131], v[124:125], v[128:129]
	global_load_b128 v[128:131], v[170:171], off offset:1104
	s_wait_loadcnt_dscnt 0x0
	v_mul_f64_e32 v[136:137], v[134:135], v[130:131]
	s_delay_alu instid0(VALU_DEP_1)
	v_fma_f64 v[195:196], v[132:133], v[128:129], -v[136:137]
	v_mul_f64_e32 v[132:133], v[132:133], v[130:131]
	ds_load_b128 v[136:139], v237 offset:8960
	v_fma_f64 v[197:198], v[134:135], v[128:129], v[132:133]
	global_load_b128 v[132:135], v[170:171], off offset:1120
	s_wait_loadcnt_dscnt 0x0
	v_mul_f64_e32 v[140:141], v[138:139], v[134:135]
	s_delay_alu instid0(VALU_DEP_1)
	v_fma_f64 v[199:200], v[136:137], v[132:133], -v[140:141]
	v_mul_f64_e32 v[136:137], v[136:137], v[134:135]
	ds_load_b128 v[140:143], v237 offset:10240
	v_fma_f64 v[201:202], v[138:139], v[132:133], v[136:137]
	global_load_b128 v[136:139], v[170:171], off offset:1136
	s_wait_loadcnt_dscnt 0x0
	v_mul_f64_e32 v[144:145], v[142:143], v[138:139]
	s_delay_alu instid0(VALU_DEP_1)
	v_fma_f64 v[203:204], v[140:141], v[136:137], -v[144:145]
	v_mul_f64_e32 v[140:141], v[140:141], v[138:139]
	ds_load_b128 v[144:147], v237 offset:15360
	v_fma_f64 v[205:206], v[142:143], v[136:137], v[140:141]
	global_load_b128 v[140:143], v[170:171], off offset:1200
	s_wait_loadcnt_dscnt 0x0
	v_mul_f64_e32 v[148:149], v[146:147], v[142:143]
	s_delay_alu instid0(VALU_DEP_1)
	v_fma_f64 v[207:208], v[144:145], v[140:141], -v[148:149]
	v_mul_f64_e32 v[144:145], v[144:145], v[142:143]
	ds_load_b128 v[148:151], v237 offset:12800
	v_add_f64_e64 v[207:208], v[186:187], -v[207:208]
	v_fma_f64 v[209:210], v[146:147], v[140:141], v[144:145]
	global_load_b128 v[144:147], v[170:171], off offset:1168
	v_add_f64_e64 v[209:210], v[188:189], -v[209:210]
	s_wait_loadcnt_dscnt 0x0
	v_mul_f64_e32 v[152:153], v[150:151], v[146:147]
	s_delay_alu instid0(VALU_DEP_1)
	v_fma_f64 v[211:212], v[148:149], v[144:145], -v[152:153]
	v_mul_f64_e32 v[148:149], v[148:149], v[146:147]
	ds_load_b128 v[152:155], v237 offset:17920
	v_add_f64_e64 v[211:212], v[178:179], -v[211:212]
	v_fma_f64 v[213:214], v[150:151], v[144:145], v[148:149]
	global_load_b128 v[148:151], v[170:171], off offset:1232
	v_fma_f64 v[251:252], v[178:179], 2.0, -v[211:212]
	v_add_f64_e64 v[213:214], v[180:181], -v[213:214]
	s_delay_alu instid0(VALU_DEP_1) | instskip(SKIP_2) | instid1(VALU_DEP_1)
	v_fma_f64 v[253:254], v[180:181], 2.0, -v[213:214]
	s_wait_loadcnt_dscnt 0x0
	v_mul_f64_e32 v[156:157], v[154:155], v[150:151]
	v_fma_f64 v[215:216], v[152:153], v[148:149], -v[156:157]
	v_mul_f64_e32 v[152:153], v[152:153], v[150:151]
	ds_load_b128 v[156:159], v237 offset:11520
	v_add_f64_e64 v[215:216], v[195:196], -v[215:216]
	v_fma_f64 v[217:218], v[154:155], v[148:149], v[152:153]
	global_load_b128 v[152:155], v[170:171], off offset:1152
	v_fma_f64 v[178:179], v[195:196], 2.0, -v[215:216]
	v_add_f64_e64 v[217:218], v[197:198], -v[217:218]
	v_add_f64_e32 v[215:216], v[213:214], v[215:216]
	s_delay_alu instid0(VALU_DEP_3) | instskip(NEXT) | instid1(VALU_DEP_3)
	v_add_f64_e64 v[231:232], v[251:252], -v[178:179]
	v_fma_f64 v[180:181], v[197:198], 2.0, -v[217:218]
	v_add_f64_e64 v[217:218], v[211:212], -v[217:218]
	s_delay_alu instid0(VALU_DEP_2) | instskip(SKIP_2) | instid1(VALU_DEP_1)
	v_add_f64_e64 v[233:234], v[253:254], -v[180:181]
	s_wait_loadcnt_dscnt 0x0
	v_mul_f64_e32 v[160:161], v[158:159], v[154:155]
	v_fma_f64 v[219:220], v[156:157], v[152:153], -v[160:161]
	v_mul_f64_e32 v[156:157], v[156:157], v[154:155]
	ds_load_b128 v[160:163], v237 offset:16640
	v_add_f64_e64 v[219:220], v[174:175], -v[219:220]
	v_fma_f64 v[221:222], v[158:159], v[152:153], v[156:157]
	global_load_b128 v[156:159], v[170:171], off offset:1216
	v_fma_f64 v[195:196], v[174:175], 2.0, -v[219:220]
	v_add_f64_e64 v[221:222], v[176:177], -v[221:222]
	s_delay_alu instid0(VALU_DEP_1) | instskip(SKIP_2) | instid1(VALU_DEP_1)
	v_fma_f64 v[197:198], v[176:177], 2.0, -v[221:222]
	s_wait_loadcnt_dscnt 0x0
	v_mul_f64_e32 v[164:165], v[162:163], v[158:159]
	v_fma_f64 v[223:224], v[160:161], v[156:157], -v[164:165]
	v_mul_f64_e32 v[160:161], v[160:161], v[158:159]
	ds_load_b128 v[164:167], v237 offset:14080
	v_add_f64_e64 v[223:224], v[191:192], -v[223:224]
	v_fma_f64 v[225:226], v[162:163], v[156:157], v[160:161]
	global_load_b128 v[160:163], v[170:171], off offset:1184
	v_fma_f64 v[174:175], v[191:192], 2.0, -v[223:224]
	v_add_f64_e64 v[225:226], v[193:194], -v[225:226]
	v_add_f64_e32 v[223:224], v[221:222], v[223:224]
	s_delay_alu instid0(VALU_DEP_3) | instskip(NEXT) | instid1(VALU_DEP_3)
	v_add_f64_e64 v[238:239], v[195:196], -v[174:175]
	v_fma_f64 v[176:177], v[193:194], 2.0, -v[225:226]
	v_add_f64_e64 v[225:226], v[219:220], -v[225:226]
	s_delay_alu instid0(VALU_DEP_3) | instskip(NEXT) | instid1(VALU_DEP_3)
	v_fma_f64 v[22:23], v[195:196], 2.0, -v[238:239]
	v_add_f64_e64 v[0:1], v[197:198], -v[176:177]
	s_wait_loadcnt_dscnt 0x0
	v_mul_f64_e32 v[172:173], v[166:167], v[162:163]
	s_delay_alu instid0(VALU_DEP_1) | instskip(SKIP_1) | instid1(VALU_DEP_2)
	v_fma_f64 v[227:228], v[164:165], v[160:161], -v[172:173]
	v_mul_f64_e32 v[164:165], v[164:165], v[162:163]
	v_add_f64_e64 v[227:228], v[182:183], -v[227:228]
	s_delay_alu instid0(VALU_DEP_2) | instskip(SKIP_4) | instid1(VALU_DEP_1)
	v_fma_f64 v[229:230], v[166:167], v[160:161], v[164:165]
	global_load_b128 v[164:167], v[170:171], off offset:1248
	ds_load_b128 v[170:173], v237 offset:19200
	v_fma_f64 v[191:192], v[182:183], 2.0, -v[227:228]
	v_add_f64_e64 v[229:230], v[184:185], -v[229:230]
	v_fma_f64 v[193:194], v[184:185], 2.0, -v[229:230]
	s_wait_loadcnt_dscnt 0x0
	v_mul_f64_e32 v[243:244], v[170:171], v[166:167]
	s_delay_alu instid0(VALU_DEP_1) | instskip(SKIP_1) | instid1(VALU_DEP_2)
	v_fma_f64 v[243:244], v[172:173], v[164:165], v[243:244]
	v_mul_f64_e32 v[172:173], v[172:173], v[166:167]
	v_add_f64_e64 v[243:244], v[201:202], -v[243:244]
	s_delay_alu instid0(VALU_DEP_2)
	v_fma_f64 v[245:246], v[170:171], v[164:165], -v[172:173]
	ds_load_b128 v[170:173], v237
	s_wait_dscnt 0x0
	v_add_f64_e64 v[205:206], v[172:173], -v[205:206]
	v_add_f64_e64 v[203:204], v[170:171], -v[203:204]
	v_fma_f64 v[182:183], v[201:202], 2.0, -v[243:244]
	v_add_f64_e64 v[245:246], v[199:200], -v[245:246]
	v_add_f64_e64 v[243:244], v[227:228], -v[243:244]
	v_fma_f64 v[249:250], v[172:173], 2.0, -v[205:206]
	v_fma_f64 v[172:173], v[188:189], 2.0, -v[209:210]
	;; [unrolled: 1-line block ×4, first 2 shown]
	v_add_f64_e64 v[209:210], v[203:204], -v[209:210]
	v_add_f64_e32 v[207:208], v[205:206], v[207:208]
	v_add_f64_e64 v[2:3], v[193:194], -v[182:183]
	v_fma_f64 v[184:185], v[199:200], 2.0, -v[245:246]
	v_add_f64_e32 v[245:246], v[229:230], v[245:246]
	v_add_f64_e64 v[201:202], v[249:250], -v[172:173]
	v_add_f64_e64 v[199:200], v[247:248], -v[170:171]
	v_fma_f64 v[195:196], v[203:204], 2.0, -v[209:210]
	v_fma_f64 v[14:15], v[215:216], s[10:11], v[207:208]
	v_fma_f64 v[203:204], v[221:222], 2.0, -v[223:224]
	v_add_f64_e64 v[174:175], v[238:239], -v[2:3]
	v_add_f64_e64 v[4:5], v[191:192], -v[184:185]
	v_fma_f64 v[2:3], v[193:194], 2.0, -v[2:3]
	v_add_f64_e32 v[188:189], v[201:202], v[231:232]
	v_add_f64_e64 v[6:7], v[199:200], -v[233:234]
	v_fma_f64 v[14:15], v[217:218], s[10:11], v[14:15]
	v_fma_f64 v[178:179], v[238:239], 2.0, -v[174:175]
	v_add_f64_e32 v[176:177], v[0:1], v[4:5]
	v_fma_f64 v[4:5], v[191:192], 2.0, -v[4:5]
	v_fma_f64 v[10:11], v[201:202], 2.0, -v[188:189]
	v_fma_f64 v[170:171], v[174:175], s[10:11], v[6:7]
	v_fma_f64 v[8:9], v[199:200], 2.0, -v[6:7]
	v_fma_f64 v[18:19], v[207:208], 2.0, -v[14:15]
	v_fma_f64 v[172:173], v[176:177], s[10:11], v[188:189]
	v_add_f64_e64 v[4:5], v[22:23], -v[4:5]
	v_fma_f64 v[170:171], v[176:177], s[2:3], v[170:171]
	s_delay_alu instid0(VALU_DEP_3)
	v_fma_f64 v[172:173], v[174:175], s[10:11], v[172:173]
	v_fma_f64 v[174:175], v[0:1], 2.0, -v[176:177]
	v_fma_f64 v[176:177], v[178:179], s[2:3], v[8:9]
	v_fma_f64 v[0:1], v[197:198], 2.0, -v[0:1]
	v_fma_f64 v[197:198], v[205:206], 2.0, -v[207:208]
	;; [unrolled: 1-line block ×4, first 2 shown]
	v_fma_f64 v[180:181], v[174:175], s[2:3], v[10:11]
	v_fma_f64 v[174:175], v[174:175], s[2:3], v[176:177]
	v_add_f64_e64 v[2:3], v[0:1], -v[2:3]
	s_delay_alu instid0(VALU_DEP_3) | instskip(SKIP_1) | instid1(VALU_DEP_3)
	v_fma_f64 v[176:177], v[178:179], s[10:11], v[180:181]
	v_fma_f64 v[178:179], v[217:218], s[10:11], v[209:210]
	v_fma_f64 v[0:1], v[0:1], 2.0, -v[2:3]
	s_delay_alu instid0(VALU_DEP_2) | instskip(SKIP_1) | instid1(VALU_DEP_2)
	v_fma_f64 v[12:13], v[215:216], s[2:3], v[178:179]
	v_fma_f64 v[178:179], v[243:244], s[10:11], v[225:226]
	v_fma_f64 v[16:17], v[209:210], 2.0, -v[12:13]
	s_delay_alu instid0(VALU_DEP_2) | instskip(SKIP_1) | instid1(VALU_DEP_2)
	;; [unrolled: 4-line block ×3, first 2 shown]
	v_fma_f64 v[184:185], v[243:244], s[10:11], v[178:179]
	v_fma_f64 v[178:179], v[182:183], s[18:19], v[12:13]
	;; [unrolled: 1-line block ×3, first 2 shown]
	s_delay_alu instid0(VALU_DEP_2) | instskip(SKIP_1) | instid1(VALU_DEP_2)
	v_fma_f64 v[178:179], v[184:185], s[12:13], v[178:179]
	s_wait_alu 0xfffe
	v_fma_f64 v[180:181], v[182:183], s[16:17], v[180:181]
	v_fma_f64 v[182:183], v[223:224], 2.0, -v[184:185]
	v_fma_f64 v[184:185], v[186:187], s[12:13], v[16:17]
	ds_store_b128 v237, v[170:173] offset:17920
	ds_store_b128 v237, v[178:181] offset:19200
	v_fma_f64 v[20:21], v[182:183], s[12:13], v[18:19]
	v_fma_f64 v[182:183], v[182:183], s[14:15], v[184:185]
	v_fma_f64 v[172:173], v[14:15], 2.0, -v[180:181]
	v_fma_f64 v[14:15], v[251:252], 2.0, -v[231:232]
	s_delay_alu instid0(VALU_DEP_4)
	v_fma_f64 v[184:185], v[186:187], s[18:19], v[20:21]
	v_fma_f64 v[186:187], v[6:7], 2.0, -v[170:171]
	v_fma_f64 v[170:171], v[12:13], 2.0, -v[178:179]
	;; [unrolled: 1-line block ×7, first 2 shown]
	v_add_f64_e64 v[14:15], v[6:7], -v[14:15]
	s_delay_alu instid0(VALU_DEP_4) | instskip(NEXT) | instid1(VALU_DEP_2)
	v_add_f64_e64 v[20:21], v[12:13], -v[20:21]
	v_add_f64_e64 v[178:179], v[14:15], -v[2:3]
	v_fma_f64 v[6:7], v[6:7], 2.0, -v[14:15]
	s_delay_alu instid0(VALU_DEP_3) | instskip(SKIP_1) | instid1(VALU_DEP_4)
	v_add_f64_e32 v[180:181], v[20:21], v[4:5]
	v_fma_f64 v[4:5], v[22:23], 2.0, -v[4:5]
	v_fma_f64 v[191:192], v[14:15], 2.0, -v[178:179]
	s_delay_alu instid0(VALU_DEP_3)
	v_fma_f64 v[193:194], v[20:21], 2.0, -v[180:181]
	ds_store_b128 v237, v[178:181] offset:15360
	v_fma_f64 v[178:179], v[219:220], 2.0, -v[225:226]
	v_fma_f64 v[180:181], v[227:228], 2.0, -v[243:244]
	ds_store_b128 v237, v[186:189] offset:7680
	ds_store_b128 v237, v[170:173] offset:8960
	v_fma_f64 v[170:171], v[8:9], 2.0, -v[174:175]
	v_fma_f64 v[8:9], v[12:13], 2.0, -v[20:21]
	;; [unrolled: 1-line block ×3, first 2 shown]
	ds_store_b128 v237, v[174:177] offset:12800
	ds_store_b128 v237, v[182:185] offset:14080
	v_fma_f64 v[174:175], v[16:17], 2.0, -v[182:183]
	v_fma_f64 v[176:177], v[18:19], 2.0, -v[184:185]
	v_fma_f64 v[207:208], v[180:181], s[2:3], v[178:179]
	s_delay_alu instid0(VALU_DEP_1) | instskip(SKIP_1) | instid1(VALU_DEP_1)
	v_fma_f64 v[207:208], v[205:206], s[2:3], v[207:208]
	v_fma_f64 v[205:206], v[205:206], s[2:3], v[203:204]
	;; [unrolled: 1-line block ×4, first 2 shown]
	s_delay_alu instid0(VALU_DEP_2) | instskip(NEXT) | instid1(VALU_DEP_2)
	v_fma_f64 v[203:204], v[203:204], 2.0, -v[205:206]
	v_fma_f64 v[209:210], v[199:200], s[10:11], v[180:181]
	v_fma_f64 v[180:181], v[199:200], s[2:3], v[195:196]
	s_delay_alu instid0(VALU_DEP_1) | instskip(SKIP_1) | instid1(VALU_DEP_4)
	v_fma_f64 v[199:200], v[201:202], s[2:3], v[180:181]
	v_fma_f64 v[201:202], v[178:179], 2.0, -v[207:208]
	v_fma_f64 v[178:179], v[205:206], s[16:17], v[209:210]
	s_delay_alu instid0(VALU_DEP_3) | instskip(NEXT) | instid1(VALU_DEP_2)
	v_fma_f64 v[211:212], v[207:208], s[16:17], v[199:200]
	v_fma_f64 v[180:181], v[207:208], s[18:19], v[178:179]
	v_fma_f64 v[207:208], v[197:198], 2.0, -v[209:210]
	s_delay_alu instid0(VALU_DEP_3) | instskip(SKIP_1) | instid1(VALU_DEP_4)
	v_fma_f64 v[178:179], v[205:206], s[14:15], v[211:212]
	v_fma_f64 v[205:206], v[195:196], 2.0, -v[199:200]
	v_fma_f64 v[184:185], v[209:210], 2.0, -v[180:181]
	s_delay_alu instid0(VALU_DEP_4)
	v_fma_f64 v[197:198], v[203:204], s[14:15], v[207:208]
	ds_store_b128 v237, v[178:181] offset:16640
	ds_store_b128 v237, v[191:194] offset:5120
	v_fma_f64 v[195:196], v[201:202], s[14:15], v[205:206]
	v_fma_f64 v[182:183], v[199:200], 2.0, -v[178:179]
	v_add_f64_e64 v[178:179], v[6:7], -v[4:5]
	v_add_f64_e64 v[180:181], v[8:9], -v[0:1]
	v_fma_f64 v[197:198], v[201:202], s[16:17], v[197:198]
	ds_store_b128 v237, v[178:181] offset:10240
	ds_store_b128 v237, v[170:173] offset:2560
	;; [unrolled: 1-line block ×4, first 2 shown]
	v_fma_f64 v[195:196], v[203:204], s[12:13], v[195:196]
	v_fma_f64 v[186:187], v[6:7], 2.0, -v[178:179]
	v_fma_f64 v[188:189], v[8:9], 2.0, -v[180:181]
	;; [unrolled: 1-line block ×3, first 2 shown]
	v_lshlrev_b32_e32 v4, 4, v255
	v_fma_f64 v[170:171], v[205:206], 2.0, -v[195:196]
	ds_store_b128 v237, v[195:198] offset:11520
	ds_store_b128 v237, v[186:189]
	ds_store_b128 v237, v[170:173] offset:1280
	global_wb scope:SCOPE_SE
	s_wait_dscnt 0x0
	s_barrier_signal -1
	s_barrier_wait -1
	global_inv scope:SCOPE_SE
	global_load_b128 v[168:171], v[168:169], off offset:20480
	ds_load_b128 v[172:175], v237
	ds_load_b128 v[178:181], v237 offset:1280
	ds_load_b128 v[184:187], v237 offset:2560
	;; [unrolled: 1-line block ×15, first 2 shown]
	scratch_store_b32 off, v255, off offset:104 ; 4-byte Folded Spill
	s_wait_loadcnt_dscnt 0xf
	v_mul_f64_e32 v[0:1], v[174:175], v[170:171]
	v_mul_f64_e32 v[2:3], v[172:173], v[170:171]
	s_delay_alu instid0(VALU_DEP_2) | instskip(NEXT) | instid1(VALU_DEP_2)
	v_fma_f64 v[170:171], v[172:173], v[168:169], -v[0:1]
	v_fma_f64 v[172:173], v[174:175], v[168:169], v[2:3]
	global_load_b128 v[174:177], v4, s[8:9] offset:1280
	s_wait_loadcnt_dscnt 0xe
	v_mul_f64_e32 v[0:1], v[180:181], v[176:177]
	v_mul_f64_e32 v[2:3], v[178:179], v[176:177]
	s_delay_alu instid0(VALU_DEP_2) | instskip(NEXT) | instid1(VALU_DEP_2)
	v_fma_f64 v[176:177], v[178:179], v[174:175], -v[0:1]
	v_fma_f64 v[178:179], v[180:181], v[174:175], v[2:3]
	global_load_b128 v[180:183], v4, s[8:9] offset:2560
	;; [unrolled: 7-line block ×15, first 2 shown]
	s_wait_loadcnt_dscnt 0x0
	v_mul_f64_e32 v[0:1], v[253:254], v[188:189]
	v_mul_f64_e32 v[2:3], v[251:252], v[188:189]
	s_delay_alu instid0(VALU_DEP_2) | instskip(NEXT) | instid1(VALU_DEP_2)
	v_fma_f64 v[251:252], v[251:252], v[186:187], -v[0:1]
	v_fma_f64 v[253:254], v[253:254], v[186:187], v[2:3]
	ds_store_b128 v237, v[170:173]
	ds_store_b128 v237, v[176:179] offset:1280
	ds_store_b128 v237, v[182:185] offset:2560
	ds_store_b128 v237, v[191:194] offset:3840
	ds_store_b128 v237, v[195:198] offset:5120
	ds_store_b128 v237, v[199:202] offset:6400
	ds_store_b128 v237, v[203:206] offset:7680
	ds_store_b128 v237, v[207:210] offset:8960
	ds_store_b128 v237, v[211:214] offset:10240
	ds_store_b128 v237, v[215:218] offset:11520
	ds_store_b128 v237, v[219:222] offset:12800
	ds_store_b128 v237, v[223:226] offset:14080
	ds_store_b128 v237, v[227:230] offset:15360
	ds_store_b128 v237, v[243:246] offset:16640
	ds_store_b128 v237, v[247:250] offset:17920
	ds_store_b128 v237, v[251:254] offset:19200
	global_wb scope:SCOPE_SE
	s_wait_storecnt_dscnt 0x0
	s_barrier_signal -1
	s_barrier_wait -1
	global_inv scope:SCOPE_SE
	ds_load_b128 v[168:171], v237 offset:10240
	ds_load_b128 v[172:175], v237
	s_wait_dscnt 0x0
	v_add_f64_e64 v[0:1], v[172:173], -v[168:169]
	v_add_f64_e64 v[2:3], v[174:175], -v[170:171]
	ds_load_b128 v[168:171], v237 offset:5120
	ds_load_b128 v[176:179], v237 offset:15360
	s_wait_dscnt 0x0
	v_add_f64_e64 v[4:5], v[168:169], -v[176:177]
	v_add_f64_e64 v[6:7], v[170:171], -v[178:179]
	ds_load_b128 v[176:179], v237 offset:2560
	ds_load_b128 v[180:183], v237 offset:12800
	v_fma_f64 v[209:210], v[172:173], 2.0, -v[0:1]
	v_fma_f64 v[211:212], v[174:175], 2.0, -v[2:3]
	s_wait_dscnt 0x0
	v_add_f64_e64 v[8:9], v[176:177], -v[180:181]
	v_add_f64_e64 v[10:11], v[178:179], -v[182:183]
	ds_load_b128 v[180:183], v237 offset:7680
	ds_load_b128 v[184:187], v237 offset:17920
	v_fma_f64 v[168:169], v[168:169], 2.0, -v[4:5]
	v_fma_f64 v[170:171], v[170:171], 2.0, -v[6:7]
	v_add_f64_e32 v[6:7], v[0:1], v[6:7]
	v_add_f64_e64 v[4:5], v[2:3], -v[4:5]
	s_wait_dscnt 0x0
	v_add_f64_e64 v[12:13], v[180:181], -v[184:185]
	v_add_f64_e64 v[14:15], v[182:183], -v[186:187]
	ds_load_b128 v[184:187], v237 offset:1280
	ds_load_b128 v[191:194], v237 offset:11520
	v_fma_f64 v[213:214], v[176:177], 2.0, -v[8:9]
	v_fma_f64 v[215:216], v[178:179], 2.0, -v[10:11]
	s_wait_dscnt 0x0
	v_add_f64_e64 v[16:17], v[184:185], -v[191:192]
	v_add_f64_e64 v[18:19], v[186:187], -v[193:194]
	ds_load_b128 v[191:194], v237 offset:6400
	ds_load_b128 v[195:198], v237 offset:16640
	v_fma_f64 v[0:1], v[0:1], 2.0, -v[6:7]
	v_fma_f64 v[2:3], v[2:3], 2.0, -v[4:5]
	;; [unrolled: 1-line block ×4, first 2 shown]
	v_add_f64_e32 v[14:15], v[8:9], v[14:15]
	v_add_f64_e64 v[12:13], v[10:11], -v[12:13]
	s_wait_dscnt 0x0
	v_add_f64_e64 v[20:21], v[191:192], -v[195:196]
	v_add_f64_e64 v[22:23], v[193:194], -v[197:198]
	ds_load_b128 v[195:198], v237 offset:3840
	ds_load_b128 v[199:202], v237 offset:14080
	v_fma_f64 v[217:218], v[184:185], 2.0, -v[16:17]
	v_fma_f64 v[219:220], v[186:187], 2.0, -v[18:19]
	s_wait_dscnt 0x0
	v_add_f64_e64 v[188:189], v[195:196], -v[199:200]
	v_add_f64_e64 v[207:208], v[197:198], -v[201:202]
	ds_load_b128 v[199:202], v237 offset:8960
	ds_load_b128 v[203:206], v237 offset:19200
	global_wb scope:SCOPE_SE
	s_wait_dscnt 0x0
	s_barrier_signal -1
	s_barrier_wait -1
	global_inv scope:SCOPE_SE
	v_fma_f64 v[176:177], v[191:192], 2.0, -v[20:21]
	v_fma_f64 v[178:179], v[193:194], 2.0, -v[22:23]
	v_add_f64_e32 v[22:23], v[16:17], v[22:23]
	v_add_f64_e64 v[20:21], v[18:19], -v[20:21]
	v_add_f64_e64 v[205:206], v[201:202], -v[205:206]
	;; [unrolled: 1-line block ×3, first 2 shown]
	v_fma_f64 v[191:192], v[195:196], 2.0, -v[188:189]
	v_fma_f64 v[193:194], v[197:198], 2.0, -v[207:208]
	v_add_f64_e64 v[195:196], v[209:210], -v[168:169]
	v_add_f64_e64 v[197:198], v[211:212], -v[170:171]
	;; [unrolled: 1-line block ×4, first 2 shown]
	v_fma_f64 v[16:17], v[16:17], 2.0, -v[22:23]
	v_fma_f64 v[180:181], v[201:202], 2.0, -v[205:206]
	;; [unrolled: 1-line block ×3, first 2 shown]
	v_add_f64_e64 v[201:202], v[215:216], -v[174:175]
	v_add_f64_e64 v[199:200], v[213:214], -v[172:173]
	v_add_f64_e32 v[205:206], v[188:189], v[205:206]
	v_add_f64_e64 v[203:204], v[207:208], -v[203:204]
	v_fma_f64 v[209:210], v[209:210], 2.0, -v[195:196]
	v_fma_f64 v[211:212], v[211:212], 2.0, -v[197:198]
	v_add_f64_e64 v[225:226], v[193:194], -v[180:181]
	v_add_f64_e64 v[227:228], v[191:192], -v[182:183]
	v_add_f64_e32 v[184:185], v[195:196], v[201:202]
	v_add_f64_e64 v[186:187], v[197:198], -v[199:200]
	s_delay_alu instid0(VALU_DEP_4) | instskip(NEXT) | instid1(VALU_DEP_4)
	v_add_f64_e32 v[168:169], v[221:222], v[225:226]
	v_add_f64_e64 v[170:171], v[223:224], -v[227:228]
	s_delay_alu instid0(VALU_DEP_4) | instskip(NEXT) | instid1(VALU_DEP_4)
	v_fma_f64 v[229:230], v[195:196], 2.0, -v[184:185]
	v_fma_f64 v[231:232], v[197:198], 2.0, -v[186:187]
	;; [unrolled: 1-line block ×4, first 2 shown]
	v_fma_f64 v[172:173], v[168:169], s[10:11], v[184:185]
	v_fma_f64 v[174:175], v[170:171], s[10:11], v[186:187]
	s_delay_alu instid0(VALU_DEP_2) | instskip(SKIP_1) | instid1(VALU_DEP_3)
	v_fma_f64 v[172:173], v[170:171], s[10:11], v[172:173]
	v_fma_f64 v[170:171], v[223:224], 2.0, -v[170:171]
	v_fma_f64 v[174:175], v[168:169], s[2:3], v[174:175]
	v_fma_f64 v[168:169], v[221:222], 2.0, -v[168:169]
	s_delay_alu instid0(VALU_DEP_4) | instskip(NEXT) | instid1(VALU_DEP_4)
	v_fma_f64 v[184:185], v[184:185], 2.0, -v[172:173]
	v_fma_f64 v[178:179], v[170:171], s[2:3], v[231:232]
	s_delay_alu instid0(VALU_DEP_4) | instskip(NEXT) | instid1(VALU_DEP_4)
	v_fma_f64 v[186:187], v[186:187], 2.0, -v[174:175]
	v_fma_f64 v[176:177], v[168:169], s[2:3], v[229:230]
	ds_store_b128 v190, v[172:175] offset:224
	v_fma_f64 v[172:173], v[213:214], 2.0, -v[199:200]
	v_fma_f64 v[174:175], v[215:216], 2.0, -v[201:202]
	;; [unrolled: 1-line block ×4, first 2 shown]
	v_fma_f64 v[178:179], v[168:169], s[2:3], v[178:179]
	v_fma_f64 v[168:169], v[14:15], s[10:11], v[6:7]
	;; [unrolled: 1-line block ×3, first 2 shown]
	ds_store_b128 v190, v[184:187] offset:96
	v_add_f64_e64 v[213:214], v[209:210], -v[172:173]
	v_add_f64_e64 v[215:216], v[211:212], -v[174:175]
	;; [unrolled: 1-line block ×4, first 2 shown]
	v_fma_f64 v[233:234], v[12:13], s[10:11], v[168:169]
	ds_store_b128 v190, v[176:179] offset:160
	v_fma_f64 v[168:169], v[12:13], s[10:11], v[4:5]
	v_add_f64_e64 v[174:175], v[215:216], -v[219:220]
	v_add_f64_e32 v[172:173], v[213:214], v[217:218]
	v_fma_f64 v[245:246], v[6:7], 2.0, -v[233:234]
	v_fma_f64 v[6:7], v[10:11], 2.0, -v[12:13]
	v_fma_f64 v[238:239], v[14:15], s[2:3], v[168:169]
	v_fma_f64 v[168:169], v[205:206], s[10:11], v[22:23]
	v_fma_f64 v[10:11], v[207:208], 2.0, -v[203:204]
	v_fma_f64 v[193:194], v[215:216], 2.0, -v[174:175]
	;; [unrolled: 1-line block ×3, first 2 shown]
	ds_store_b128 v190, v[172:175] offset:192
	v_fma_f64 v[247:248], v[4:5], 2.0, -v[238:239]
	v_fma_f64 v[180:181], v[203:204], s[10:11], v[168:169]
	v_fma_f64 v[168:169], v[203:204], s[10:11], v[20:21]
	v_fma_f64 v[4:5], v[8:9], 2.0, -v[14:15]
	v_fma_f64 v[8:9], v[18:19], 2.0, -v[20:21]
	v_fma_f64 v[14:15], v[6:7], s[2:3], v[2:3]
	v_fma_f64 v[243:244], v[22:23], 2.0, -v[180:181]
	v_fma_f64 v[22:23], v[188:189], 2.0, -v[205:206]
	v_fma_f64 v[182:183], v[205:206], s[2:3], v[168:169]
	v_fma_f64 v[168:169], v[180:181], s[18:19], v[233:234]
	;; [unrolled: 1-line block ×7, first 2 shown]
	v_fma_f64 v[2:3], v[2:3], 2.0, -v[14:15]
	v_fma_f64 v[4:5], v[6:7], s[10:11], v[4:5]
	v_fma_f64 v[12:13], v[10:11], s[10:11], v[12:13]
	;; [unrolled: 1-line block ×4, first 2 shown]
	v_fma_f64 v[180:181], v[20:21], 2.0, -v[182:183]
	v_fma_f64 v[182:183], v[243:244], s[12:13], v[245:246]
	v_fma_f64 v[0:1], v[0:1], 2.0, -v[4:5]
	v_fma_f64 v[184:185], v[233:234], 2.0, -v[168:169]
	;; [unrolled: 1-line block ×3, first 2 shown]
	v_fma_f64 v[10:11], v[22:23], s[2:3], v[10:11]
	v_fma_f64 v[18:19], v[12:13], s[16:17], v[4:5]
	;; [unrolled: 1-line block ×4, first 2 shown]
	v_fma_f64 v[186:187], v[238:239], 2.0, -v[170:171]
	v_fma_f64 v[16:17], v[10:11], s[16:17], v[14:15]
	v_fma_f64 v[8:9], v[8:9], 2.0, -v[10:11]
	v_fma_f64 v[182:183], v[243:244], s[14:15], v[249:250]
	v_fma_f64 v[172:173], v[10:11], s[18:19], v[18:19]
	;; [unrolled: 1-line block ×3, first 2 shown]
	ds_store_b128 v190, v[184:187] offset:112
	v_fma_f64 v[184:185], v[229:230], 2.0, -v[176:177]
	v_fma_f64 v[176:177], v[245:246], 2.0, -v[180:181]
	;; [unrolled: 1-line block ×3, first 2 shown]
	v_fma_f64 v[174:175], v[12:13], s[14:15], v[16:17]
	v_fma_f64 v[12:13], v[8:9], s[14:15], v[2:3]
	ds_store_b128 v190, v[180:183] offset:176
	v_fma_f64 v[180:181], v[4:5], 2.0, -v[172:173]
	v_fma_f64 v[195:196], v[8:9], s[16:17], v[10:11]
	v_fma_f64 v[4:5], v[209:210], 2.0, -v[213:214]
	v_fma_f64 v[8:9], v[199:200], 2.0, -v[219:220]
	v_fma_f64 v[10:11], v[201:202], 2.0, -v[217:218]
	v_fma_f64 v[178:179], v[247:248], 2.0, -v[182:183]
	ds_store_b128 v190, v[172:175] offset:208
	ds_store_b128 v190, v[191:194] offset:64
	v_fma_f64 v[197:198], v[6:7], s[12:13], v[12:13]
	v_fma_f64 v[6:7], v[211:212], 2.0, -v[215:216]
	v_fma_f64 v[182:183], v[14:15], 2.0, -v[174:175]
	v_add_f64_e64 v[172:173], v[4:5], -v[8:9]
	s_delay_alu instid0(VALU_DEP_3)
	v_add_f64_e64 v[174:175], v[6:7], -v[10:11]
	ds_store_b128 v190, v[172:175] offset:128
	ds_store_b128 v190, v[184:187] offset:32
	;; [unrolled: 1-line block ×4, first 2 shown]
	v_fma_f64 v[191:192], v[4:5], 2.0, -v[172:173]
	v_fma_f64 v[193:194], v[6:7], 2.0, -v[174:175]
	;; [unrolled: 1-line block ×4, first 2 shown]
	ds_store_b128 v190, v[195:198] offset:144
	ds_store_b128 v190, v[191:194]
	ds_store_b128 v190, v[172:175] offset:16
	ds_store_b128 v190, v[168:171] offset:240
	global_wb scope:SCOPE_SE
	s_wait_dscnt 0x0
	s_barrier_signal -1
	s_barrier_wait -1
	global_inv scope:SCOPE_SE
	ds_load_b128 v[204:207], v237
	ds_load_b128 v[188:191], v237 offset:1280
	ds_load_b128 v[212:215], v237 offset:8192
	;; [unrolled: 1-line block ×14, first 2 shown]
	s_and_saveexec_b32 s2, vcc_lo
	s_cbranch_execz .LBB0_7
; %bb.6:
	ds_load_b128 v[168:171], v237 offset:3840
	ds_load_b128 v[92:95], v237 offset:7936
	;; [unrolled: 1-line block ×5, first 2 shown]
.LBB0_7:
	s_wait_alu 0xfffe
	s_or_b32 exec_lo, exec_lo, s2
	s_wait_dscnt 0x8
	v_mul_f64_e32 v[0:1], v[66:67], v[230:231]
	s_wait_dscnt 0x6
	v_mul_f64_e32 v[4:5], v[66:67], v[226:227]
	v_mul_f64_e32 v[2:3], v[66:67], v[228:229]
	;; [unrolled: 1-line block ×3, first 2 shown]
	s_wait_dscnt 0x4
	v_mul_f64_e32 v[12:13], v[74:75], v[218:219]
	v_mul_f64_e32 v[6:7], v[70:71], v[212:213]
	;; [unrolled: 1-line block ×4, first 2 shown]
	s_mov_b32 s10, 0x134454ff
	s_mov_b32 s11, 0xbfee6f0e
	;; [unrolled: 1-line block ×3, first 2 shown]
	s_wait_alu 0xfffe
	s_mov_b32 s12, s10
	s_mov_b32 s2, 0x4755a5e
	;; [unrolled: 1-line block ×4, first 2 shown]
	s_wait_alu 0xfffe
	s_mov_b32 s8, s2
	s_mov_b32 s14, 0x372fe950
	;; [unrolled: 1-line block ×3, first 2 shown]
	global_wb scope:SCOPE_SE
	s_wait_dscnt 0x0
	s_barrier_signal -1
	s_barrier_wait -1
	global_inv scope:SCOPE_SE
	v_fma_f64 v[0:1], v[235:236], v[228:229], v[0:1]
	v_fma_f64 v[228:229], v[235:236], v[224:225], v[4:5]
	v_mul_f64_e32 v[4:5], v[66:67], v[224:225]
	v_fma_f64 v[8:9], v[90:91], v[208:209], v[8:9]
	v_fma_f64 v[12:13], v[86:87], v[216:217], v[12:13]
	v_fma_f64 v[2:3], v[235:236], v[230:231], -v[2:3]
	v_fma_f64 v[6:7], v[78:79], v[214:215], -v[6:7]
	;; [unrolled: 1-line block ×5, first 2 shown]
	v_mul_f64_e32 v[4:5], v[66:67], v[222:223]
	v_add_f64_e64 v[18:19], v[12:13], -v[8:9]
	v_add_f64_e32 v[22:23], v[2:3], v[10:11]
	v_add_f64_e64 v[20:21], v[14:15], -v[10:11]
	v_add_f64_e64 v[216:217], v[6:7], -v[14:15]
	;; [unrolled: 1-line block ×3, first 2 shown]
	v_fma_f64 v[224:225], v[235:236], v[220:221], v[4:5]
	v_mul_f64_e32 v[4:5], v[66:67], v[220:221]
	v_fma_f64 v[22:23], v[22:23], -0.5, v[206:207]
	s_delay_alu instid0(VALU_DEP_2) | instskip(SKIP_2) | instid1(VALU_DEP_2)
	v_fma_f64 v[66:67], v[235:236], v[222:223], -v[4:5]
	v_mul_f64_e32 v[4:5], v[70:71], v[214:215]
	v_add_f64_e64 v[222:223], v[0:1], -v[8:9]
	v_fma_f64 v[4:5], v[78:79], v[212:213], v[4:5]
	s_delay_alu instid0(VALU_DEP_1) | instskip(SKIP_1) | instid1(VALU_DEP_2)
	v_add_f64_e64 v[16:17], v[4:5], -v[0:1]
	v_add_f64_e64 v[220:221], v[4:5], -v[12:13]
	v_add_f64_e32 v[16:17], v[16:17], v[18:19]
	v_add_f64_e64 v[18:19], v[6:7], -v[2:3]
	s_delay_alu instid0(VALU_DEP_3) | instskip(SKIP_1) | instid1(VALU_DEP_3)
	v_fma_f64 v[210:211], v[220:221], s[10:11], v[22:23]
	v_fma_f64 v[22:23], v[220:221], s[12:13], v[22:23]
	v_add_f64_e32 v[18:19], v[18:19], v[20:21]
	v_add_f64_e32 v[20:21], v[0:1], v[8:9]
	s_delay_alu instid0(VALU_DEP_3) | instskip(SKIP_2) | instid1(VALU_DEP_3)
	v_fma_f64 v[22:23], v[222:223], s[2:3], v[22:23]
	s_wait_alu 0xfffe
	v_fma_f64 v[210:211], v[222:223], s[8:9], v[210:211]
	v_fma_f64 v[20:21], v[20:21], -0.5, v[204:205]
	s_delay_alu instid0(VALU_DEP_3) | instskip(SKIP_1) | instid1(VALU_DEP_4)
	v_fma_f64 v[214:215], v[18:19], s[14:15], v[22:23]
	v_add_f64_e32 v[22:23], v[206:207], v[2:3]
	v_fma_f64 v[210:211], v[18:19], s[14:15], v[210:211]
	v_add_f64_e32 v[18:19], v[6:7], v[14:15]
	v_add_f64_e64 v[2:3], v[2:3], -v[6:7]
	v_fma_f64 v[208:209], v[216:217], s[12:13], v[20:21]
	v_fma_f64 v[20:21], v[216:217], s[10:11], v[20:21]
	s_delay_alu instid0(VALU_DEP_4) | instskip(NEXT) | instid1(VALU_DEP_3)
	v_fma_f64 v[18:19], v[18:19], -0.5, v[206:207]
	v_fma_f64 v[208:209], v[218:219], s[2:3], v[208:209]
	s_delay_alu instid0(VALU_DEP_3) | instskip(NEXT) | instid1(VALU_DEP_2)
	v_fma_f64 v[20:21], v[218:219], s[8:9], v[20:21]
	v_fma_f64 v[208:209], v[16:17], s[14:15], v[208:209]
	s_delay_alu instid0(VALU_DEP_2) | instskip(SKIP_3) | instid1(VALU_DEP_3)
	v_fma_f64 v[212:213], v[16:17], s[14:15], v[20:21]
	v_add_f64_e32 v[20:21], v[204:205], v[0:1]
	v_add_f64_e32 v[16:17], v[4:5], v[12:13]
	v_add_f64_e64 v[0:1], v[0:1], -v[4:5]
	v_add_f64_e32 v[4:5], v[20:21], v[4:5]
	v_add_f64_e32 v[20:21], v[22:23], v[6:7]
	s_delay_alu instid0(VALU_DEP_4) | instskip(NEXT) | instid1(VALU_DEP_3)
	v_fma_f64 v[16:17], v[16:17], -0.5, v[204:205]
	v_add_f64_e32 v[4:5], v[4:5], v[12:13]
	s_delay_alu instid0(VALU_DEP_3) | instskip(SKIP_1) | instid1(VALU_DEP_3)
	v_add_f64_e32 v[6:7], v[20:21], v[14:15]
	v_add_f64_e64 v[12:13], v[8:9], -v[12:13]
	v_add_f64_e32 v[204:205], v[4:5], v[8:9]
	s_delay_alu instid0(VALU_DEP_3)
	v_add_f64_e32 v[206:207], v[6:7], v[10:11]
	v_add_f64_e64 v[4:5], v[10:11], -v[14:15]
	v_fma_f64 v[6:7], v[218:219], s[10:11], v[16:17]
	v_fma_f64 v[8:9], v[218:219], s[12:13], v[16:17]
	;; [unrolled: 1-line block ×4, first 2 shown]
	v_add_f64_e32 v[0:1], v[0:1], v[12:13]
	v_add_f64_e32 v[2:3], v[2:3], v[4:5]
	v_fma_f64 v[4:5], v[216:217], s[2:3], v[6:7]
	v_fma_f64 v[6:7], v[216:217], s[8:9], v[8:9]
	;; [unrolled: 1-line block ×4, first 2 shown]
	s_delay_alu instid0(VALU_DEP_4) | instskip(NEXT) | instid1(VALU_DEP_4)
	v_fma_f64 v[216:217], v[0:1], s[14:15], v[4:5]
	v_fma_f64 v[220:221], v[0:1], s[14:15], v[6:7]
	s_delay_alu instid0(VALU_DEP_4)
	v_fma_f64 v[218:219], v[2:3], s[14:15], v[8:9]
	v_mul_f64_e32 v[0:1], v[70:71], v[198:199]
	v_mul_f64_e32 v[4:5], v[74:75], v[202:203]
	;; [unrolled: 1-line block ×3, first 2 shown]
	v_fma_f64 v[222:223], v[2:3], s[14:15], v[10:11]
	v_mul_f64_e32 v[2:3], v[70:71], v[196:197]
	v_mul_f64_e32 v[6:7], v[74:75], v[200:201]
	;; [unrolled: 1-line block ×3, first 2 shown]
	ds_store_b128 v242, v[204:207]
	ds_store_b128 v242, v[216:219] offset:256
	ds_store_b128 v242, v[208:211] offset:512
	;; [unrolled: 1-line block ×4, first 2 shown]
	v_fma_f64 v[0:1], v[78:79], v[196:197], v[0:1]
	v_fma_f64 v[4:5], v[86:87], v[200:201], v[4:5]
	;; [unrolled: 1-line block ×3, first 2 shown]
	v_fma_f64 v[2:3], v[78:79], v[198:199], -v[2:3]
	v_fma_f64 v[6:7], v[86:87], v[202:203], -v[6:7]
	;; [unrolled: 1-line block ×3, first 2 shown]
	v_add_f64_e64 v[12:13], v[0:1], -v[228:229]
	v_add_f64_e64 v[200:201], v[0:1], -v[4:5]
	;; [unrolled: 1-line block ×7, first 2 shown]
	v_add_f64_e32 v[18:19], v[226:227], v[10:11]
	v_add_f64_e64 v[22:23], v[226:227], -v[10:11]
	v_add_f64_e32 v[12:13], v[12:13], v[14:15]
	v_add_f64_e64 v[14:15], v[2:3], -v[226:227]
	s_delay_alu instid0(VALU_DEP_4) | instskip(NEXT) | instid1(VALU_DEP_2)
	v_fma_f64 v[18:19], v[18:19], -0.5, v[190:191]
	v_add_f64_e32 v[14:15], v[14:15], v[16:17]
	v_add_f64_e32 v[16:17], v[228:229], v[8:9]
	s_delay_alu instid0(VALU_DEP_3) | instskip(SKIP_1) | instid1(VALU_DEP_3)
	v_fma_f64 v[194:195], v[200:201], s[10:11], v[18:19]
	v_fma_f64 v[18:19], v[200:201], s[12:13], v[18:19]
	v_fma_f64 v[16:17], v[16:17], -0.5, v[188:189]
	s_delay_alu instid0(VALU_DEP_3) | instskip(NEXT) | instid1(VALU_DEP_3)
	v_fma_f64 v[194:195], v[202:203], s[8:9], v[194:195]
	v_fma_f64 v[18:19], v[202:203], s[2:3], v[18:19]
	s_delay_alu instid0(VALU_DEP_3) | instskip(SKIP_1) | instid1(VALU_DEP_4)
	v_fma_f64 v[192:193], v[20:21], s[12:13], v[16:17]
	v_fma_f64 v[16:17], v[20:21], s[10:11], v[16:17]
	;; [unrolled: 1-line block ×3, first 2 shown]
	s_delay_alu instid0(VALU_DEP_4) | instskip(SKIP_4) | instid1(VALU_DEP_3)
	v_fma_f64 v[198:199], v[14:15], s[14:15], v[18:19]
	v_add_f64_e32 v[18:19], v[190:191], v[226:227]
	v_add_f64_e32 v[14:15], v[2:3], v[6:7]
	v_fma_f64 v[192:193], v[22:23], s[2:3], v[192:193]
	v_fma_f64 v[16:17], v[22:23], s[8:9], v[16:17]
	v_fma_f64 v[14:15], v[14:15], -0.5, v[190:191]
	s_delay_alu instid0(VALU_DEP_3) | instskip(NEXT) | instid1(VALU_DEP_3)
	v_fma_f64 v[192:193], v[12:13], s[14:15], v[192:193]
	v_fma_f64 v[196:197], v[12:13], s[14:15], v[16:17]
	v_add_f64_e32 v[16:17], v[188:189], v[228:229]
	v_add_f64_e32 v[12:13], v[0:1], v[4:5]
	s_delay_alu instid0(VALU_DEP_2) | instskip(SKIP_1) | instid1(VALU_DEP_3)
	v_add_f64_e32 v[0:1], v[16:17], v[0:1]
	v_add_f64_e32 v[16:17], v[18:19], v[2:3]
	v_fma_f64 v[12:13], v[12:13], -0.5, v[188:189]
	v_add_f64_e64 v[2:3], v[226:227], -v[2:3]
	s_delay_alu instid0(VALU_DEP_4) | instskip(NEXT) | instid1(VALU_DEP_4)
	v_add_f64_e32 v[0:1], v[0:1], v[4:5]
	v_add_f64_e32 v[16:17], v[16:17], v[6:7]
	v_add_f64_e64 v[4:5], v[8:9], -v[4:5]
	s_delay_alu instid0(VALU_DEP_3) | instskip(NEXT) | instid1(VALU_DEP_3)
	v_add_f64_e32 v[188:189], v[0:1], v[8:9]
	v_add_f64_e32 v[190:191], v[16:17], v[10:11]
	v_add_f64_e64 v[0:1], v[10:11], -v[6:7]
	v_fma_f64 v[6:7], v[22:23], s[10:11], v[12:13]
	v_fma_f64 v[8:9], v[22:23], s[12:13], v[12:13]
	;; [unrolled: 1-line block ×4, first 2 shown]
	v_add_f64_e32 v[4:5], v[204:205], v[4:5]
	v_add_f64_e32 v[0:1], v[2:3], v[0:1]
	v_fma_f64 v[2:3], v[20:21], s[2:3], v[6:7]
	v_fma_f64 v[6:7], v[20:21], s[8:9], v[8:9]
	;; [unrolled: 1-line block ×4, first 2 shown]
	s_delay_alu instid0(VALU_DEP_4) | instskip(NEXT) | instid1(VALU_DEP_4)
	v_fma_f64 v[200:201], v[4:5], s[14:15], v[2:3]
	v_fma_f64 v[204:205], v[4:5], s[14:15], v[6:7]
	s_delay_alu instid0(VALU_DEP_4) | instskip(NEXT) | instid1(VALU_DEP_4)
	v_fma_f64 v[202:203], v[0:1], s[14:15], v[8:9]
	v_fma_f64 v[206:207], v[0:1], s[14:15], v[10:11]
	v_mul_f64_e32 v[0:1], v[70:71], v[186:187]
	v_mul_f64_e32 v[4:5], v[74:75], v[182:183]
	;; [unrolled: 1-line block ×6, first 2 shown]
	ds_store_b128 v241, v[188:191]
	ds_store_b128 v241, v[200:203] offset:256
	ds_store_b128 v241, v[192:195] offset:512
	;; [unrolled: 1-line block ×4, first 2 shown]
	v_fma_f64 v[0:1], v[78:79], v[184:185], v[0:1]
	v_fma_f64 v[4:5], v[86:87], v[180:181], v[4:5]
	;; [unrolled: 1-line block ×3, first 2 shown]
	v_fma_f64 v[2:3], v[78:79], v[186:187], -v[2:3]
	v_fma_f64 v[6:7], v[86:87], v[182:183], -v[6:7]
	;; [unrolled: 1-line block ×3, first 2 shown]
	v_add_f64_e64 v[12:13], v[0:1], -v[224:225]
	v_add_f64_e64 v[74:75], v[0:1], -v[4:5]
	;; [unrolled: 1-line block ×6, first 2 shown]
	v_add_f64_e32 v[18:19], v[66:67], v[10:11]
	v_add_f64_e64 v[22:23], v[66:67], -v[10:11]
	v_add_f64_e32 v[12:13], v[12:13], v[14:15]
	v_add_f64_e64 v[14:15], v[2:3], -v[66:67]
	s_delay_alu instid0(VALU_DEP_4) | instskip(NEXT) | instid1(VALU_DEP_2)
	v_fma_f64 v[18:19], v[18:19], -0.5, v[174:175]
	v_add_f64_e32 v[14:15], v[14:15], v[16:17]
	v_add_f64_e32 v[16:17], v[224:225], v[8:9]
	s_delay_alu instid0(VALU_DEP_3) | instskip(SKIP_1) | instid1(VALU_DEP_3)
	v_fma_f64 v[82:83], v[74:75], s[10:11], v[18:19]
	v_fma_f64 v[18:19], v[74:75], s[12:13], v[18:19]
	v_fma_f64 v[16:17], v[16:17], -0.5, v[172:173]
	s_delay_alu instid0(VALU_DEP_3) | instskip(NEXT) | instid1(VALU_DEP_3)
	v_fma_f64 v[82:83], v[78:79], s[8:9], v[82:83]
	v_fma_f64 v[18:19], v[78:79], s[2:3], v[18:19]
	s_delay_alu instid0(VALU_DEP_3) | instskip(SKIP_1) | instid1(VALU_DEP_4)
	v_fma_f64 v[70:71], v[20:21], s[12:13], v[16:17]
	v_fma_f64 v[16:17], v[20:21], s[10:11], v[16:17]
	;; [unrolled: 1-line block ×3, first 2 shown]
	s_delay_alu instid0(VALU_DEP_4) | instskip(SKIP_4) | instid1(VALU_DEP_3)
	v_fma_f64 v[182:183], v[14:15], s[14:15], v[18:19]
	v_add_f64_e32 v[18:19], v[174:175], v[66:67]
	v_add_f64_e32 v[14:15], v[2:3], v[6:7]
	v_fma_f64 v[70:71], v[22:23], s[2:3], v[70:71]
	v_fma_f64 v[16:17], v[22:23], s[8:9], v[16:17]
	v_fma_f64 v[14:15], v[14:15], -0.5, v[174:175]
	s_delay_alu instid0(VALU_DEP_3) | instskip(NEXT) | instid1(VALU_DEP_3)
	v_fma_f64 v[176:177], v[12:13], s[14:15], v[70:71]
	v_fma_f64 v[180:181], v[12:13], s[14:15], v[16:17]
	v_add_f64_e32 v[16:17], v[172:173], v[224:225]
	v_add_f64_e32 v[12:13], v[0:1], v[4:5]
	v_add_f64_e64 v[70:71], v[224:225], -v[0:1]
	s_delay_alu instid0(VALU_DEP_3) | instskip(SKIP_1) | instid1(VALU_DEP_4)
	v_add_f64_e32 v[0:1], v[16:17], v[0:1]
	v_add_f64_e32 v[16:17], v[18:19], v[2:3]
	v_fma_f64 v[12:13], v[12:13], -0.5, v[172:173]
	v_add_f64_e64 v[2:3], v[66:67], -v[2:3]
	s_delay_alu instid0(VALU_DEP_4) | instskip(NEXT) | instid1(VALU_DEP_4)
	v_add_f64_e32 v[0:1], v[0:1], v[4:5]
	v_add_f64_e32 v[16:17], v[16:17], v[6:7]
	v_add_f64_e64 v[4:5], v[8:9], -v[4:5]
	s_delay_alu instid0(VALU_DEP_3) | instskip(NEXT) | instid1(VALU_DEP_3)
	v_add_f64_e32 v[172:173], v[0:1], v[8:9]
	v_add_f64_e32 v[174:175], v[16:17], v[10:11]
	v_add_f64_e64 v[0:1], v[10:11], -v[6:7]
	v_fma_f64 v[6:7], v[22:23], s[10:11], v[12:13]
	v_fma_f64 v[8:9], v[22:23], s[12:13], v[12:13]
	;; [unrolled: 1-line block ×4, first 2 shown]
	v_add_f64_e32 v[4:5], v[70:71], v[4:5]
	v_add_f64_e32 v[0:1], v[2:3], v[0:1]
	v_fma_f64 v[2:3], v[20:21], s[2:3], v[6:7]
	v_fma_f64 v[6:7], v[20:21], s[8:9], v[8:9]
	v_fma_f64 v[8:9], v[74:75], s[8:9], v[10:11]
	v_fma_f64 v[10:11], v[74:75], s[2:3], v[12:13]
	s_delay_alu instid0(VALU_DEP_4) | instskip(NEXT) | instid1(VALU_DEP_4)
	v_fma_f64 v[184:185], v[4:5], s[14:15], v[2:3]
	v_fma_f64 v[188:189], v[4:5], s[14:15], v[6:7]
	s_delay_alu instid0(VALU_DEP_4) | instskip(NEXT) | instid1(VALU_DEP_4)
	v_fma_f64 v[186:187], v[0:1], s[14:15], v[8:9]
	v_fma_f64 v[190:191], v[0:1], s[14:15], v[10:11]
	ds_store_b128 v240, v[172:175]
	ds_store_b128 v240, v[184:187] offset:256
	ds_store_b128 v240, v[176:179] offset:512
	;; [unrolled: 1-line block ×4, first 2 shown]
	s_and_saveexec_b32 s16, vcc_lo
	s_cbranch_execz .LBB0_9
; %bb.8:
	scratch_load_b64 v[14:15], off, off offset:112 th:TH_LOAD_LU ; 8-byte Folded Reload
	v_mul_f64_e32 v[0:1], v[84:85], v[112:113]
	v_mul_f64_e32 v[2:3], v[76:77], v[92:93]
	v_mul_f64_e32 v[6:7], v[88:89], v[116:117]
	v_mul_f64_e32 v[8:9], v[84:85], v[114:115]
	v_mul_f64_e32 v[10:11], v[88:89], v[118:119]
	v_mul_f64_e32 v[12:13], v[76:77], v[94:95]
	v_fma_f64 v[0:1], v[68:69], v[114:115], -v[0:1]
	v_fma_f64 v[2:3], v[64:65], v[94:95], -v[2:3]
	;; [unrolled: 1-line block ×3, first 2 shown]
	v_fma_f64 v[8:9], v[68:69], v[112:113], v[8:9]
	v_fma_f64 v[10:11], v[72:73], v[116:117], v[10:11]
	;; [unrolled: 1-line block ×3, first 2 shown]
	v_add_f64_e32 v[68:69], v[170:171], v[2:3]
	v_add_f64_e32 v[18:19], v[0:1], v[6:7]
	v_add_f64_e64 v[74:75], v[0:1], -v[6:7]
	v_add_f64_e32 v[20:21], v[8:9], v[10:11]
	v_add_f64_e32 v[70:71], v[168:169], v[12:13]
	v_add_f64_e64 v[64:65], v[8:9], -v[10:11]
	v_add_f64_e64 v[76:77], v[0:1], -v[2:3]
	;; [unrolled: 1-line block ×3, first 2 shown]
	v_fma_f64 v[18:19], v[18:19], -0.5, v[170:171]
	v_fma_f64 v[20:21], v[20:21], -0.5, v[168:169]
	s_wait_loadcnt 0x0
	v_mul_f64_e32 v[4:5], v[14:15], v[108:109]
	v_mul_f64_e32 v[14:15], v[14:15], v[110:111]
	s_delay_alu instid0(VALU_DEP_2) | instskip(NEXT) | instid1(VALU_DEP_2)
	v_fma_f64 v[4:5], v[80:81], v[110:111], -v[4:5]
	v_fma_f64 v[14:15], v[80:81], v[108:109], v[14:15]
	s_delay_alu instid0(VALU_DEP_2) | instskip(NEXT) | instid1(VALU_DEP_2)
	v_add_f64_e32 v[16:17], v[2:3], v[4:5]
	v_add_f64_e32 v[22:23], v[12:13], v[14:15]
	v_add_f64_e64 v[66:67], v[12:13], -v[14:15]
	v_add_f64_e64 v[72:73], v[2:3], -v[4:5]
	;; [unrolled: 1-line block ×4, first 2 shown]
	v_add_f64_e32 v[0:1], v[68:69], v[0:1]
	v_add_f64_e32 v[8:9], v[70:71], v[8:9]
	v_add_f64_e64 v[80:81], v[4:5], -v[6:7]
	v_add_f64_e64 v[86:87], v[14:15], -v[10:11]
	v_add_f64_e64 v[78:79], v[6:7], -v[4:5]
	v_add_f64_e64 v[84:85], v[10:11], -v[14:15]
	v_fma_f64 v[16:17], v[16:17], -0.5, v[170:171]
	v_fma_f64 v[22:23], v[22:23], -0.5, v[168:169]
	v_fma_f64 v[70:71], v[66:67], s[10:11], v[18:19]
	v_fma_f64 v[18:19], v[66:67], s[12:13], v[18:19]
	;; [unrolled: 1-line block ×4, first 2 shown]
	v_add_f64_e32 v[0:1], v[0:1], v[6:7]
	v_add_f64_e32 v[6:7], v[8:9], v[10:11]
	;; [unrolled: 1-line block ×6, first 2 shown]
	v_fma_f64 v[68:69], v[64:65], s[12:13], v[16:17]
	v_fma_f64 v[16:17], v[64:65], s[10:11], v[16:17]
	;; [unrolled: 1-line block ×12, first 2 shown]
	v_add_f64_e32 v[66:67], v[0:1], v[4:5]
	v_add_f64_e32 v[64:65], v[6:7], v[14:15]
	v_fma_f64 v[82:83], v[2:3], s[14:15], v[18:19]
	v_fma_f64 v[70:71], v[76:77], s[14:15], v[8:9]
	v_fma_f64 v[80:81], v[12:13], s[14:15], v[68:69]
	v_fma_f64 v[74:75], v[76:77], s[14:15], v[10:11]
	v_fma_f64 v[72:73], v[84:85], s[14:15], v[86:87]
	v_fma_f64 v[68:69], v[84:85], s[14:15], v[22:23]
	v_fma_f64 v[78:79], v[2:3], s[14:15], v[16:17]
	v_fma_f64 v[76:77], v[12:13], s[14:15], v[20:21]
	ds_store_b128 v237, v[64:67] offset:19200
	ds_store_b128 v237, v[80:83] offset:19456
	;; [unrolled: 1-line block ×5, first 2 shown]
.LBB0_9:
	s_wait_alu 0xfffe
	s_or_b32 exec_lo, exec_lo, s16
	global_wb scope:SCOPE_SE
	s_wait_dscnt 0x0
	s_barrier_signal -1
	s_barrier_wait -1
	global_inv scope:SCOPE_SE
	ds_load_b128 v[64:67], v237 offset:1280
	ds_load_b128 v[68:71], v237 offset:2560
	ds_load_b128 v[72:75], v237 offset:3840
	ds_load_b128 v[76:79], v237 offset:5120
	ds_load_b128 v[80:83], v237 offset:6400
	ds_load_b128 v[84:87], v237 offset:7680
	ds_load_b128 v[88:91], v237 offset:8960
	ds_load_b128 v[92:95], v237 offset:10240
	ds_load_b128 v[108:111], v237 offset:11520
	ds_load_b128 v[112:115], v237 offset:12800
	ds_load_b128 v[116:119], v237 offset:14080
	ds_load_b128 v[168:171], v237 offset:15360
	ds_load_b128 v[172:175], v237 offset:16640
	ds_load_b128 v[176:179], v237 offset:17920
	ds_load_b128 v[180:183], v237 offset:19200
	s_mov_b32 s2, 0x667f3bcd
	s_mov_b32 s3, 0xbfe6a09e
	;; [unrolled: 1-line block ×3, first 2 shown]
	s_wait_alu 0xfffe
	s_mov_b32 s8, s2
	s_mov_b32 s10, 0xcf328d46
	s_wait_dscnt 0xe
	v_mul_f64_e32 v[0:1], v[106:107], v[66:67]
	v_mul_f64_e32 v[2:3], v[106:107], v[64:65]
	s_wait_dscnt 0xd
	v_mul_f64_e32 v[4:5], v[102:103], v[70:71]
	v_mul_f64_e32 v[6:7], v[102:103], v[68:69]
	;; [unrolled: 3-line block ×9, first 2 shown]
	v_mul_f64_e32 v[134:135], v[146:147], v[114:115]
	v_mul_f64_e32 v[138:139], v[146:147], v[112:113]
	s_wait_dscnt 0x1
	v_mul_f64_e32 v[142:143], v[150:151], v[178:179]
	v_mul_f64_e32 v[146:147], v[150:151], v[176:177]
	;; [unrolled: 1-line block ×7, first 2 shown]
	s_wait_dscnt 0x0
	v_mul_f64_e32 v[188:189], v[166:167], v[180:181]
	v_mul_f64_e32 v[166:167], v[166:167], v[182:183]
	;; [unrolled: 1-line block ×3, first 2 shown]
	s_mov_b32 s11, 0xbfed906b
	s_mov_b32 s17, 0x3fed906b
	s_wait_alu 0xfffe
	s_mov_b32 s16, s10
	s_mov_b32 s12, 0xa6aea964
	;; [unrolled: 1-line block ×4, first 2 shown]
	s_wait_alu 0xfffe
	s_mov_b32 s14, s12
	v_fma_f64 v[0:1], v[104:105], v[64:65], v[0:1]
	v_fma_f64 v[2:3], v[104:105], v[66:67], -v[2:3]
	v_fma_f64 v[4:5], v[100:101], v[68:69], v[4:5]
	v_fma_f64 v[6:7], v[100:101], v[70:71], -v[6:7]
	v_fma_f64 v[8:9], v[96:97], v[72:73], v[8:9]
	v_fma_f64 v[10:11], v[96:97], v[74:75], -v[10:11]
	v_fma_f64 v[12:13], v[120:121], v[76:77], v[12:13]
	ds_load_b128 v[64:67], v237
	v_fma_f64 v[16:17], v[124:125], v[80:81], v[16:17]
	v_fma_f64 v[18:19], v[124:125], v[82:83], -v[18:19]
	v_fma_f64 v[20:21], v[128:129], v[84:85], v[20:21]
	v_fma_f64 v[14:15], v[120:121], v[78:79], -v[14:15]
	;; [unrolled: 2-line block ×5, first 2 shown]
	v_fma_f64 v[78:79], v[140:141], v[170:171], -v[130:131]
	v_fma_f64 v[82:83], v[144:145], v[114:115], -v[138:139]
	v_fma_f64 v[84:85], v[148:149], v[176:177], v[142:143]
	v_fma_f64 v[80:81], v[144:145], v[112:113], v[134:135]
	v_fma_f64 v[86:87], v[148:149], v[178:179], -v[146:147]
	v_fma_f64 v[90:91], v[152:153], v[110:111], -v[154:155]
	v_fma_f64 v[92:93], v[156:157], v[172:173], v[184:185]
	v_fma_f64 v[96:97], v[160:161], v[116:117], v[186:187]
	v_fma_f64 v[98:99], v[160:161], v[118:119], -v[162:163]
	v_fma_f64 v[100:101], v[164:165], v[182:183], -v[188:189]
	v_fma_f64 v[102:103], v[164:165], v[180:181], v[166:167]
	v_fma_f64 v[94:95], v[156:157], v[174:175], -v[158:159]
	v_fma_f64 v[88:89], v[152:153], v[108:109], v[150:151]
	s_wait_dscnt 0x0
	v_add_f64_e64 v[72:73], v[64:65], -v[72:73]
	v_add_f64_e64 v[74:75], v[66:67], -v[74:75]
	;; [unrolled: 1-line block ×16, first 2 shown]
	v_fma_f64 v[64:65], v[64:65], 2.0, -v[72:73]
	v_fma_f64 v[66:67], v[66:67], 2.0, -v[74:75]
	v_add_f64_e64 v[106:107], v[74:75], -v[76:77]
	v_fma_f64 v[12:13], v[12:13], 2.0, -v[76:77]
	v_add_f64_e32 v[104:105], v[72:73], v[78:79]
	v_fma_f64 v[14:15], v[14:15], 2.0, -v[78:79]
	v_add_f64_e64 v[110:111], v[82:83], -v[84:85]
	v_fma_f64 v[6:7], v[6:7], 2.0, -v[82:83]
	v_add_f64_e32 v[108:109], v[80:81], v[86:87]
	v_fma_f64 v[22:23], v[22:23], 2.0, -v[86:87]
	v_add_f64_e64 v[114:115], v[90:91], -v[92:93]
	v_fma_f64 v[2:3], v[2:3], 2.0, -v[90:91]
	v_fma_f64 v[8:9], v[8:9], 2.0, -v[96:97]
	v_add_f64_e32 v[116:117], v[96:97], v[100:101]
	v_add_f64_e64 v[118:119], v[98:99], -v[102:103]
	v_fma_f64 v[18:19], v[18:19], 2.0, -v[94:95]
	v_fma_f64 v[68:69], v[68:69], 2.0, -v[102:103]
	;; [unrolled: 1-line block ×4, first 2 shown]
	v_add_f64_e32 v[112:113], v[88:89], v[94:95]
	v_fma_f64 v[4:5], v[4:5], 2.0, -v[80:81]
	v_fma_f64 v[0:1], v[0:1], 2.0, -v[88:89]
	v_fma_f64 v[16:17], v[16:17], 2.0, -v[92:93]
	v_fma_f64 v[70:71], v[70:71], 2.0, -v[100:101]
	v_fma_f64 v[74:75], v[74:75], 2.0, -v[106:107]
	v_add_f64_e64 v[12:13], v[64:65], -v[12:13]
	v_fma_f64 v[72:73], v[72:73], 2.0, -v[104:105]
	v_add_f64_e64 v[14:15], v[66:67], -v[14:15]
	v_fma_f64 v[78:79], v[82:83], 2.0, -v[110:111]
	v_fma_f64 v[76:77], v[80:81], 2.0, -v[108:109]
	v_add_f64_e64 v[22:23], v[6:7], -v[22:23]
	v_fma_f64 v[82:83], v[90:91], 2.0, -v[114:115]
	v_fma_f64 v[90:91], v[110:111], s[8:9], v[106:107]
	v_fma_f64 v[84:85], v[96:97], 2.0, -v[116:117]
	v_fma_f64 v[86:87], v[98:99], 2.0, -v[118:119]
	v_add_f64_e64 v[18:19], v[2:3], -v[18:19]
	v_add_f64_e64 v[68:69], v[8:9], -v[68:69]
	v_fma_f64 v[94:95], v[118:119], s[8:9], v[114:115]
	v_fma_f64 v[80:81], v[88:89], 2.0, -v[112:113]
	v_add_f64_e64 v[20:21], v[4:5], -v[20:21]
	v_fma_f64 v[88:89], v[108:109], s[8:9], v[104:105]
	v_add_f64_e64 v[16:17], v[0:1], -v[16:17]
	v_add_f64_e64 v[70:71], v[10:11], -v[70:71]
	v_fma_f64 v[92:93], v[116:117], s[8:9], v[112:113]
	v_fma_f64 v[64:65], v[64:65], 2.0, -v[12:13]
	v_fma_f64 v[66:67], v[66:67], 2.0, -v[14:15]
	v_fma_f64 v[98:99], v[78:79], s[2:3], v[74:75]
	v_fma_f64 v[96:97], v[76:77], s[2:3], v[72:73]
	v_fma_f64 v[6:7], v[6:7], 2.0, -v[22:23]
	v_add_f64_e32 v[22:23], v[12:13], v[22:23]
	v_fma_f64 v[120:121], v[108:109], s[2:3], v[90:91]
	v_fma_f64 v[102:103], v[86:87], s[2:3], v[82:83]
	v_fma_f64 v[2:3], v[2:3], 2.0, -v[18:19]
	v_fma_f64 v[8:9], v[8:9], 2.0, -v[68:69]
	v_add_f64_e64 v[90:91], v[18:19], -v[68:69]
	scratch_load_b64 v[68:69], off, off offset:96 th:TH_LOAD_LU ; 8-byte Folded Reload
	v_fma_f64 v[100:101], v[84:85], s[2:3], v[80:81]
	v_fma_f64 v[4:5], v[4:5], 2.0, -v[20:21]
	v_add_f64_e64 v[20:21], v[14:15], -v[20:21]
	v_fma_f64 v[110:111], v[110:111], s[8:9], v[88:89]
	v_add_f64_e32 v[88:89], v[16:17], v[70:71]
	v_fma_f64 v[92:93], v[118:119], s[8:9], v[92:93]
	v_fma_f64 v[94:95], v[116:117], s[2:3], v[94:95]
	v_fma_f64 v[0:1], v[0:1], 2.0, -v[16:17]
	v_fma_f64 v[10:11], v[10:11], 2.0, -v[70:71]
	v_fma_f64 v[126:127], v[76:77], s[2:3], v[98:99]
	v_fma_f64 v[124:125], v[78:79], s[8:9], v[96:97]
	v_add_f64_e64 v[6:7], v[66:67], -v[6:7]
	v_fma_f64 v[12:13], v[12:13], 2.0, -v[22:23]
	v_fma_f64 v[128:129], v[106:107], 2.0, -v[120:121]
	v_fma_f64 v[98:99], v[84:85], s[2:3], v[102:103]
	v_fma_f64 v[18:19], v[18:19], 2.0, -v[90:91]
	v_fma_f64 v[96:97], v[86:87], s[8:9], v[100:101]
	v_add_f64_e64 v[4:5], v[64:65], -v[4:5]
	v_fma_f64 v[14:15], v[14:15], 2.0, -v[20:21]
	v_fma_f64 v[122:123], v[104:105], 2.0, -v[110:111]
	;; [unrolled: 1-line block ×5, first 2 shown]
	v_add_f64_e64 v[8:9], v[0:1], -v[8:9]
	v_add_f64_e64 v[10:11], v[2:3], -v[10:11]
	v_fma_f64 v[76:77], v[92:93], s[16:17], v[110:111]
	v_fma_f64 v[78:79], v[94:95], s[16:17], v[120:121]
	v_fma_f64 v[132:133], v[74:75], 2.0, -v[126:127]
	v_fma_f64 v[74:75], v[90:91], s[8:9], v[20:21]
	v_fma_f64 v[130:131], v[72:73], 2.0, -v[124:125]
	;; [unrolled: 2-line block ×3, first 2 shown]
	v_fma_f64 v[106:107], v[82:83], 2.0, -v[98:99]
	scratch_load_b32 v82, off, off offset:104 th:TH_LOAD_LU ; 4-byte Folded Reload
	v_fma_f64 v[134:135], v[98:99], s[12:13], v[126:127]
	v_fma_f64 v[104:105], v[80:81], 2.0, -v[96:97]
	v_fma_f64 v[112:113], v[64:65], 2.0, -v[4:5]
	v_fma_f64 v[66:67], v[18:19], s[2:3], v[14:15]
	v_fma_f64 v[118:119], v[96:97], s[12:13], v[124:125]
	;; [unrolled: 1-line block ×3, first 2 shown]
	s_wait_alu 0xfffe
	v_fma_f64 v[108:109], v[100:101], s[14:15], v[122:123]
	v_fma_f64 v[116:117], v[102:103], s[14:15], v[128:129]
	v_fma_f64 v[0:1], v[0:1], 2.0, -v[8:9]
	v_fma_f64 v[2:3], v[2:3], 2.0, -v[10:11]
	v_fma_f64 v[76:77], v[94:95], s[12:13], v[76:77]
	v_fma_f64 v[78:79], v[92:93], s[14:15], v[78:79]
	;; [unrolled: 1-line block ×10, first 2 shown]
	s_mov_b32 s2, 0x9999999a
	s_mov_b32 s3, 0x3f499999
	v_fma_f64 v[108:109], v[110:111], 2.0, -v[76:77]
	v_fma_f64 v[110:111], v[120:121], 2.0, -v[78:79]
	v_fma_f64 v[98:99], v[104:105], s[14:15], v[138:139]
	v_fma_f64 v[126:127], v[126:127], 2.0, -v[94:95]
	v_fma_f64 v[96:97], v[106:107], s[12:13], v[136:137]
	v_fma_f64 v[106:107], v[20:21], 2.0, -v[74:75]
	v_fma_f64 v[118:119], v[14:15], 2.0, -v[86:87]
	;; [unrolled: 1-line block ×4, first 2 shown]
	s_wait_loadcnt 0x1
	v_mov_b32_e32 v80, v68
	s_delay_alu instid0(VALU_DEP_1) | instskip(SKIP_2) | instid1(VALU_DEP_1)
	v_mad_co_u64_u32 v[68:69], null, s6, v80, 0
	s_wait_loadcnt 0x0
	v_mad_co_u64_u32 v[70:71], null, s4, v82, 0
	v_mad_co_u64_u32 v[80:81], null, s7, v80, v[69:70]
	s_delay_alu instid0(VALU_DEP_2)
	v_mad_co_u64_u32 v[81:82], null, s5, v82, v[71:72]
	v_fma_f64 v[72:73], v[90:91], s[8:9], v[72:73]
	v_fma_f64 v[90:91], v[100:101], s[10:11], v[116:117]
	v_add_f64_e64 v[82:83], v[114:115], -v[2:3]
	v_fma_f64 v[116:117], v[12:13], 2.0, -v[84:85]
	v_mov_b32_e32 v69, v80
	v_mov_b32_e32 v71, v81
	v_add_f64_e64 v[80:81], v[112:113], -v[0:1]
	s_delay_alu instid0(VALU_DEP_3) | instskip(SKIP_1) | instid1(VALU_DEP_4)
	v_lshlrev_b64_e32 v[140:141], 4, v[68:69]
	v_add_f64_e32 v[68:69], v[4:5], v[10:11]
	v_lshlrev_b64_e32 v[142:143], 4, v[70:71]
	v_add_f64_e64 v[70:71], v[6:7], -v[8:9]
	s_delay_alu instid0(VALU_DEP_4) | instskip(SKIP_3) | instid1(VALU_DEP_2)
	v_add_co_u32 v66, vcc_lo, s0, v140
	s_wait_alu 0xfffd
	v_add_co_ci_u32_e32 v67, vcc_lo, s1, v141, vcc_lo
	s_mul_u64 s[0:1], s[4:5], 0x500
	v_add_co_u32 v64, vcc_lo, v66, v142
	s_wait_alu 0xfffd
	s_delay_alu instid0(VALU_DEP_2) | instskip(SKIP_1) | instid1(VALU_DEP_2)
	v_add_co_ci_u32_e32 v65, vcc_lo, v67, v143, vcc_lo
	s_wait_alu 0xfffe
	v_add_co_u32 v134, vcc_lo, v64, s0
	s_wait_alu 0xfffd
	s_delay_alu instid0(VALU_DEP_2) | instskip(NEXT) | instid1(VALU_DEP_2)
	v_add_co_ci_u32_e32 v135, vcc_lo, s1, v65, vcc_lo
	v_add_co_u32 v136, vcc_lo, v134, s0
	s_wait_alu 0xfffd
	s_delay_alu instid0(VALU_DEP_2) | instskip(NEXT) | instid1(VALU_DEP_2)
	v_add_co_ci_u32_e32 v137, vcc_lo, s1, v135, vcc_lo
	v_add_co_u32 v138, vcc_lo, v136, s0
	s_wait_alu 0xfffd
	s_delay_alu instid0(VALU_DEP_2)
	v_add_co_ci_u32_e32 v139, vcc_lo, s1, v137, vcc_lo
	v_fma_f64 v[104:105], v[22:23], 2.0, -v[72:73]
	v_fma_f64 v[122:123], v[128:129], 2.0, -v[90:91]
	;; [unrolled: 1-line block ×5, first 2 shown]
	scratch_load_b32 v23, off, off offset:108 th:TH_LOAD_LU ; 4-byte Folded Reload
	v_fma_f64 v[112:113], v[112:113], 2.0, -v[80:81]
	v_add_co_u32 v132, vcc_lo, v138, s0
	v_fma_f64 v[100:101], v[4:5], 2.0, -v[68:69]
	s_wait_alu 0xfffd
	v_add_co_ci_u32_e32 v133, vcc_lo, s1, v139, vcc_lo
	v_fma_f64 v[102:103], v[6:7], 2.0, -v[70:71]
	v_add_co_u32 v140, vcc_lo, v132, s0
	s_wait_alu 0xfffd
	s_delay_alu instid0(VALU_DEP_3)
	v_add_co_ci_u32_e32 v141, vcc_lo, s1, v133, vcc_lo
	ds_store_b128 v237, v[72:75] offset:17920
	ds_store_b128 v237, v[76:79] offset:19200
	;; [unrolled: 1-line block ×14, first 2 shown]
	ds_store_b128 v237, v[112:115]
	ds_store_b128 v237, v[128:131] offset:1280
	global_wb scope:SCOPE_SE
	s_wait_loadcnt_dscnt 0x0
	s_barrier_signal -1
	s_barrier_wait -1
	global_inv scope:SCOPE_SE
	ds_load_b128 v[68:71], v237
	ds_load_b128 v[72:75], v237 offset:1280
                                        ; kill: def $vgpr1 killed $sgpr0 killed $exec
	ds_load_b128 v[76:79], v237 offset:2560
	ds_load_b128 v[80:83], v237 offset:3840
	;; [unrolled: 1-line block ×14, first 2 shown]
	s_clause 0x1
	scratch_load_b128 v[178:181], off, off offset:16 th:TH_LOAD_LU
	scratch_load_b128 v[174:177], off, off th:TH_LOAD_LU
	v_add_co_u32 v142, vcc_lo, v140, s0
	s_wait_alu 0xfffd
	v_add_co_ci_u32_e32 v143, vcc_lo, s1, v141, vcc_lo
	scratch_load_b128 v[186:189], off, off offset:64 th:TH_LOAD_LU ; 16-byte Folded Reload
	v_add_co_u32 v144, vcc_lo, v142, s0
	s_wait_alu 0xfffd
	v_add_co_ci_u32_e32 v145, vcc_lo, s1, v143, vcc_lo
	s_wait_dscnt 0x9
	v_mul_f64_e32 v[152:153], v[34:35], v[94:95]
	v_mul_f64_e32 v[34:35], v[34:35], v[92:93]
	s_wait_dscnt 0x8
	v_mul_f64_e32 v[154:155], v[26:27], v[98:99]
	v_mad_co_u64_u32 v[148:149], null, 0xa00, s4, v[144:145]
	v_mul_f64_e32 v[26:27], v[26:27], v[96:97]
	s_wait_dscnt 0x7
	v_mul_f64_e32 v[156:157], v[30:31], v[102:103]
	v_mul_f64_e32 v[30:31], v[30:31], v[100:101]
	s_wait_dscnt 0x6
	v_mul_f64_e32 v[158:159], v[38:39], v[106:107]
	;; [unrolled: 3-line block ×3, first 2 shown]
	v_mov_b32_e32 v0, v149
	v_mul_f64_e32 v[42:43], v[42:43], v[108:109]
	s_wait_dscnt 0x4
	v_mul_f64_e32 v[162:163], v[46:47], v[114:115]
	v_mul_f64_e32 v[46:47], v[46:47], v[112:113]
	s_wait_dscnt 0x3
	v_mul_f64_e32 v[164:165], v[50:51], v[118:119]
	v_mad_co_u64_u32 v[0:1], null, 0xa00, s5, v[0:1]
	v_mul_f64_e32 v[50:51], v[50:51], v[116:117]
	s_wait_dscnt 0x2
	v_mul_f64_e32 v[166:167], v[54:55], v[122:123]
	v_mul_f64_e32 v[54:55], v[54:55], v[120:121]
	s_wait_dscnt 0x1
	v_mul_f64_e32 v[168:169], v[58:59], v[126:127]
	;; [unrolled: 3-line block ×3, first 2 shown]
	v_mul_f64_e32 v[62:63], v[62:63], v[128:129]
	v_add_co_u32 v172, vcc_lo, v148, s0
	v_fma_f64 v[38:39], v[36:37], v[106:107], -v[38:39]
	v_fma_f64 v[42:43], v[40:41], v[110:111], -v[42:43]
	;; [unrolled: 1-line block ×7, first 2 shown]
	v_mul_f64_e32 v[38:39], s[2:3], v[38:39]
	v_mul_f64_e32 v[42:43], s[2:3], v[42:43]
	;; [unrolled: 1-line block ×7, first 2 shown]
	v_mad_co_u64_u32 v[146:147], null, s4, v23, 0
	s_delay_alu instid0(VALU_DEP_1) | instskip(SKIP_1) | instid1(VALU_DEP_1)
	v_dual_mov_b32 v149, v0 :: v_dual_mov_b32 v0, v147
	s_wait_alu 0xfffd
	v_add_co_ci_u32_e32 v173, vcc_lo, s1, v149, vcc_lo
	s_wait_loadcnt 0x2
	v_mul_f64_e32 v[1:2], v[180:181], v[70:71]
	v_mul_f64_e32 v[3:4], v[180:181], v[68:69]
	scratch_load_b128 v[180:183], off, off offset:32 th:TH_LOAD_LU ; 16-byte Folded Reload
	s_wait_loadcnt 0x2
	v_mul_f64_e32 v[5:6], v[176:177], v[74:75]
	v_mul_f64_e32 v[7:8], v[176:177], v[72:73]
	s_wait_loadcnt 0x1
	v_mul_f64_e32 v[9:10], v[188:189], v[78:79]
	v_mul_f64_e32 v[11:12], v[188:189], v[76:77]
	scratch_load_b128 v[188:191], off, off offset:80 th:TH_LOAD_LU ; 16-byte Folded Reload
	v_fma_f64 v[1:2], v[178:179], v[68:69], v[1:2]
	v_fma_f64 v[3:4], v[178:179], v[70:71], -v[3:4]
	v_fma_f64 v[70:71], v[32:33], v[92:93], v[152:153]
	v_fma_f64 v[5:6], v[174:175], v[72:73], v[5:6]
	v_fma_f64 v[7:8], v[174:175], v[74:75], -v[7:8]
	v_fma_f64 v[32:33], v[32:33], v[94:95], -v[34:35]
	v_fma_f64 v[9:10], v[186:187], v[76:77], v[9:10]
	v_fma_f64 v[11:12], v[186:187], v[78:79], -v[11:12]
	v_fma_f64 v[34:35], v[24:25], v[96:97], v[154:155]
	;; [unrolled: 2-line block ×4, first 2 shown]
	v_mad_co_u64_u32 v[92:93], null, s5, v23, v[0:1]
	v_mul_f64_e32 v[0:1], s[2:3], v[1:2]
	v_mul_f64_e32 v[2:3], s[2:3], v[3:4]
	;; [unrolled: 1-line block ×13, first 2 shown]
	v_add_co_u32 v93, vcc_lo, v172, s0
	s_wait_alu 0xfffd
	v_add_co_ci_u32_e32 v94, vcc_lo, s1, v173, vcc_lo
	v_mov_b32_e32 v147, v92
	s_delay_alu instid0(VALU_DEP_1)
	v_lshlrev_b64_e32 v[72:73], 4, v[146:147]
	s_wait_loadcnt 0x1
	v_mul_f64_e32 v[13:14], v[182:183], v[82:83]
	v_mul_f64_e32 v[15:16], v[182:183], v[80:81]
	scratch_load_b128 v[182:185], off, off offset:48 th:TH_LOAD_LU ; 16-byte Folded Reload
	s_wait_loadcnt 0x1
	v_mul_f64_e32 v[17:18], v[190:191], v[86:87]
	v_mul_f64_e32 v[19:20], v[190:191], v[84:85]
	v_fma_f64 v[13:14], v[180:181], v[80:81], v[13:14]
	v_fma_f64 v[15:16], v[180:181], v[82:83], -v[15:16]
	v_fma_f64 v[80:81], v[40:41], v[108:109], v[160:161]
	v_fma_f64 v[82:83], v[44:45], v[112:113], v[162:163]
	;; [unrolled: 1-line block ×3, first 2 shown]
	v_fma_f64 v[19:20], v[188:189], v[86:87], -v[19:20]
	v_fma_f64 v[84:85], v[48:49], v[116:117], v[164:165]
	v_fma_f64 v[86:87], v[52:53], v[120:121], v[166:167]
	v_mul_f64_e32 v[12:13], s[2:3], v[13:14]
	v_mul_f64_e32 v[14:15], s[2:3], v[15:16]
	;; [unrolled: 1-line block ×8, first 2 shown]
	s_wait_loadcnt 0x0
	v_mul_f64_e32 v[21:22], v[184:185], v[90:91]
	v_mul_f64_e32 v[150:151], v[184:185], v[88:89]
	s_delay_alu instid0(VALU_DEP_2) | instskip(NEXT) | instid1(VALU_DEP_2)
	v_fma_f64 v[21:22], v[182:183], v[88:89], v[21:22]
	v_fma_f64 v[68:69], v[182:183], v[90:91], -v[150:151]
	v_fma_f64 v[88:89], v[56:57], v[124:125], v[168:169]
	v_fma_f64 v[90:91], v[60:61], v[128:129], v[170:171]
	s_delay_alu instid0(VALU_DEP_4) | instskip(NEXT) | instid1(VALU_DEP_4)
	v_mul_f64_e32 v[20:21], s[2:3], v[21:22]
	v_mul_f64_e32 v[22:23], s[2:3], v[68:69]
	s_delay_alu instid0(VALU_DEP_4) | instskip(NEXT) | instid1(VALU_DEP_4)
	v_mul_f64_e32 v[56:57], s[2:3], v[88:89]
	v_mul_f64_e32 v[60:61], s[2:3], v[90:91]
	v_add_co_u32 v68, vcc_lo, v93, s0
	s_wait_alu 0xfffd
	v_add_co_ci_u32_e32 v69, vcc_lo, s1, v94, vcc_lo
	s_delay_alu instid0(VALU_DEP_2) | instskip(SKIP_1) | instid1(VALU_DEP_2)
	v_add_co_u32 v70, vcc_lo, v68, s0
	s_wait_alu 0xfffd
	v_add_co_ci_u32_e32 v71, vcc_lo, s1, v69, vcc_lo
	s_delay_alu instid0(VALU_DEP_2) | instskip(SKIP_1) | instid1(VALU_DEP_2)
	v_add_co_u32 v74, vcc_lo, v70, s0
	s_wait_alu 0xfffd
	v_add_co_ci_u32_e32 v75, vcc_lo, s1, v71, vcc_lo
	v_add_co_u32 v66, vcc_lo, v66, v72
	s_wait_alu 0xfffd
	v_add_co_ci_u32_e32 v67, vcc_lo, v67, v73, vcc_lo
	v_add_co_u32 v72, vcc_lo, v74, s0
	s_wait_alu 0xfffd
	v_add_co_ci_u32_e32 v73, vcc_lo, s1, v75, vcc_lo
	s_clause 0x4
	global_store_b128 v[64:65], v[0:3], off
	global_store_b128 v[134:135], v[4:7], off
	;; [unrolled: 1-line block ×16, first 2 shown]
.LBB0_10:
	s_nop 0
	s_sendmsg sendmsg(MSG_DEALLOC_VGPRS)
	s_endpgm
	.section	.rodata,"a",@progbits
	.p2align	6, 0x0
	.amdhsa_kernel bluestein_single_fwd_len1280_dim1_dp_op_CI_CI
		.amdhsa_group_segment_fixed_size 20480
		.amdhsa_private_segment_fixed_size 124
		.amdhsa_kernarg_size 104
		.amdhsa_user_sgpr_count 2
		.amdhsa_user_sgpr_dispatch_ptr 0
		.amdhsa_user_sgpr_queue_ptr 0
		.amdhsa_user_sgpr_kernarg_segment_ptr 1
		.amdhsa_user_sgpr_dispatch_id 0
		.amdhsa_user_sgpr_private_segment_size 0
		.amdhsa_wavefront_size32 1
		.amdhsa_uses_dynamic_stack 0
		.amdhsa_enable_private_segment 1
		.amdhsa_system_sgpr_workgroup_id_x 1
		.amdhsa_system_sgpr_workgroup_id_y 0
		.amdhsa_system_sgpr_workgroup_id_z 0
		.amdhsa_system_sgpr_workgroup_info 0
		.amdhsa_system_vgpr_workitem_id 0
		.amdhsa_next_free_vgpr 256
		.amdhsa_next_free_sgpr 22
		.amdhsa_reserve_vcc 1
		.amdhsa_float_round_mode_32 0
		.amdhsa_float_round_mode_16_64 0
		.amdhsa_float_denorm_mode_32 3
		.amdhsa_float_denorm_mode_16_64 3
		.amdhsa_fp16_overflow 0
		.amdhsa_workgroup_processor_mode 1
		.amdhsa_memory_ordered 1
		.amdhsa_forward_progress 0
		.amdhsa_round_robin_scheduling 0
		.amdhsa_exception_fp_ieee_invalid_op 0
		.amdhsa_exception_fp_denorm_src 0
		.amdhsa_exception_fp_ieee_div_zero 0
		.amdhsa_exception_fp_ieee_overflow 0
		.amdhsa_exception_fp_ieee_underflow 0
		.amdhsa_exception_fp_ieee_inexact 0
		.amdhsa_exception_int_div_zero 0
	.end_amdhsa_kernel
	.text
.Lfunc_end0:
	.size	bluestein_single_fwd_len1280_dim1_dp_op_CI_CI, .Lfunc_end0-bluestein_single_fwd_len1280_dim1_dp_op_CI_CI
                                        ; -- End function
	.section	.AMDGPU.csdata,"",@progbits
; Kernel info:
; codeLenInByte = 17172
; NumSgprs: 24
; NumVgprs: 256
; ScratchSize: 124
; MemoryBound: 0
; FloatMode: 240
; IeeeMode: 1
; LDSByteSize: 20480 bytes/workgroup (compile time only)
; SGPRBlocks: 2
; VGPRBlocks: 31
; NumSGPRsForWavesPerEU: 24
; NumVGPRsForWavesPerEU: 256
; Occupancy: 5
; WaveLimiterHint : 1
; COMPUTE_PGM_RSRC2:SCRATCH_EN: 1
; COMPUTE_PGM_RSRC2:USER_SGPR: 2
; COMPUTE_PGM_RSRC2:TRAP_HANDLER: 0
; COMPUTE_PGM_RSRC2:TGID_X_EN: 1
; COMPUTE_PGM_RSRC2:TGID_Y_EN: 0
; COMPUTE_PGM_RSRC2:TGID_Z_EN: 0
; COMPUTE_PGM_RSRC2:TIDIG_COMP_CNT: 0
	.text
	.p2alignl 7, 3214868480
	.fill 96, 4, 3214868480
	.type	__hip_cuid_d60386acd02f1101,@object ; @__hip_cuid_d60386acd02f1101
	.section	.bss,"aw",@nobits
	.globl	__hip_cuid_d60386acd02f1101
__hip_cuid_d60386acd02f1101:
	.byte	0                               ; 0x0
	.size	__hip_cuid_d60386acd02f1101, 1

	.ident	"AMD clang version 19.0.0git (https://github.com/RadeonOpenCompute/llvm-project roc-6.4.0 25133 c7fe45cf4b819c5991fe208aaa96edf142730f1d)"
	.section	".note.GNU-stack","",@progbits
	.addrsig
	.addrsig_sym __hip_cuid_d60386acd02f1101
	.amdgpu_metadata
---
amdhsa.kernels:
  - .args:
      - .actual_access:  read_only
        .address_space:  global
        .offset:         0
        .size:           8
        .value_kind:     global_buffer
      - .actual_access:  read_only
        .address_space:  global
        .offset:         8
        .size:           8
        .value_kind:     global_buffer
      - .actual_access:  read_only
        .address_space:  global
        .offset:         16
        .size:           8
        .value_kind:     global_buffer
      - .actual_access:  read_only
        .address_space:  global
        .offset:         24
        .size:           8
        .value_kind:     global_buffer
      - .actual_access:  read_only
        .address_space:  global
        .offset:         32
        .size:           8
        .value_kind:     global_buffer
      - .offset:         40
        .size:           8
        .value_kind:     by_value
      - .address_space:  global
        .offset:         48
        .size:           8
        .value_kind:     global_buffer
      - .address_space:  global
        .offset:         56
        .size:           8
        .value_kind:     global_buffer
      - .address_space:  global
        .offset:         64
        .size:           8
        .value_kind:     global_buffer
      - .address_space:  global
        .offset:         72
        .size:           8
        .value_kind:     global_buffer
      - .offset:         80
        .size:           4
        .value_kind:     by_value
      - .address_space:  global
        .offset:         88
        .size:           8
        .value_kind:     global_buffer
      - .address_space:  global
        .offset:         96
        .size:           8
        .value_kind:     global_buffer
    .group_segment_fixed_size: 20480
    .kernarg_segment_align: 8
    .kernarg_segment_size: 104
    .language:       OpenCL C
    .language_version:
      - 2
      - 0
    .max_flat_workgroup_size: 80
    .name:           bluestein_single_fwd_len1280_dim1_dp_op_CI_CI
    .private_segment_fixed_size: 124
    .sgpr_count:     24
    .sgpr_spill_count: 0
    .symbol:         bluestein_single_fwd_len1280_dim1_dp_op_CI_CI.kd
    .uniform_work_group_size: 1
    .uses_dynamic_stack: false
    .vgpr_count:     256
    .vgpr_spill_count: 30
    .wavefront_size: 32
    .workgroup_processor_mode: 1
amdhsa.target:   amdgcn-amd-amdhsa--gfx1201
amdhsa.version:
  - 1
  - 2
...

	.end_amdgpu_metadata
